;; amdgpu-corpus repo=zjin-lcf/HeCBench kind=compiled arch=gfx1250 opt=O3
	.amdgcn_target "amdgcn-amd-amdhsa--gfx1250"
	.amdhsa_code_object_version 6
	.text
	.protected	_Z20kernelUpdateParticlePfS_PKfS1_iff ; -- Begin function _Z20kernelUpdateParticlePfS_PKfS1_iff
	.globl	_Z20kernelUpdateParticlePfS_PKfS1_iff
	.p2align	8
	.type	_Z20kernelUpdateParticlePfS_PKfS1_iff,@function
_Z20kernelUpdateParticlePfS_PKfS1_iff:  ; @_Z20kernelUpdateParticlePfS_PKfS1_iff
; %bb.0:
	s_clause 0x1
	s_load_b32 s2, s[0:1], 0x3c
	s_load_b96 s[4:6], s[0:1], 0x20
	s_bfe_u32 s3, ttmp6, 0x4000c
	s_and_b32 s7, ttmp6, 15
	s_add_co_i32 s3, s3, 1
	s_getreg_b32 s8, hwreg(HW_REG_IB_STS2, 6, 4)
	s_mul_i32 s3, ttmp9, s3
	s_delay_alu instid0(SALU_CYCLE_1) | instskip(SKIP_4) | instid1(SALU_CYCLE_1)
	s_add_co_i32 s7, s7, s3
	s_wait_kmcnt 0x0
	s_and_b32 s2, s2, 0xffff
	s_cmp_eq_u32 s8, 0
	s_cselect_b32 s3, ttmp9, s7
	v_mad_u32 v0, s3, s2, v0
	s_mul_i32 s2, s4, 30
	s_delay_alu instid0(VALU_DEP_1) | instid1(SALU_CYCLE_1)
	v_cmp_gt_i32_e32 vcc_lo, s2, v0
	s_and_saveexec_b32 s2, vcc_lo
	s_cbranch_execz .LBB0_2
; %bb.1:
	v_mul_hi_i32 v1, 0x88888889, v0
	s_load_b256 s[8:15], s[0:1], 0x0
	s_wait_xcnt 0x0
	s_mov_b32 s0, 0x3fc00000
	v_dual_mov_b32 v6, s5 :: v_dual_mov_b32 v7, s6
	s_delay_alu instid0(VALU_DEP_1) | instskip(NEXT) | instid1(VALU_DEP_3)
	v_pk_mul_f32 v[6:7], v[6:7], s[0:1] op_sel_hi:[1,0]
	v_add_nc_u32_e32 v1, v1, v0
	s_delay_alu instid0(VALU_DEP_1) | instskip(NEXT) | instid1(VALU_DEP_1)
	v_dual_lshrrev_b32 v2, 31, v1 :: v_dual_ashrrev_i32 v1, 4, v1
	v_add_nc_u32_e32 v1, v1, v2
	s_delay_alu instid0(VALU_DEP_1) | instskip(NEXT) | instid1(VALU_DEP_1)
	v_mul_lo_u32 v1, v1, 30
	v_sub_nc_u32_e32 v1, v0, v1
	s_wait_kmcnt 0x0
	global_load_b32 v3, v1, s[14:15] scale_offset
	s_clause 0x2
	global_load_b32 v2, v0, s[12:13] scale_offset
	global_load_b32 v4, v0, s[8:9] scale_offset
	;; [unrolled: 1-line block ×3, first 2 shown]
	s_wait_loadcnt 0x0
	v_pk_add_f32 v[2:3], v[2:3], v[4:5] op_sel_hi:[1,0] neg_lo:[0,1] neg_hi:[0,1]
	s_delay_alu instid0(VALU_DEP_1) | instskip(NEXT) | instid1(VALU_DEP_1)
	v_pk_mul_f32 v[2:3], v[6:7], v[2:3]
	v_fma_f32 v1, 0.5, v5, v2
	s_delay_alu instid0(VALU_DEP_1) | instskip(NEXT) | instid1(VALU_DEP_1)
	v_add_f32_e32 v1, v1, v3
	v_add_f32_e32 v2, v4, v1
	s_clause 0x1
	global_store_b32 v0, v1, s[10:11] scale_offset
	global_store_b32 v0, v2, s[8:9] scale_offset
.LBB0_2:
	s_endpgm
	.section	.rodata,"a",@progbits
	.p2align	6, 0x0
	.amdhsa_kernel _Z20kernelUpdateParticlePfS_PKfS1_iff
		.amdhsa_group_segment_fixed_size 0
		.amdhsa_private_segment_fixed_size 0
		.amdhsa_kernarg_size 304
		.amdhsa_user_sgpr_count 2
		.amdhsa_user_sgpr_dispatch_ptr 0
		.amdhsa_user_sgpr_queue_ptr 0
		.amdhsa_user_sgpr_kernarg_segment_ptr 1
		.amdhsa_user_sgpr_dispatch_id 0
		.amdhsa_user_sgpr_kernarg_preload_length 0
		.amdhsa_user_sgpr_kernarg_preload_offset 0
		.amdhsa_user_sgpr_private_segment_size 0
		.amdhsa_wavefront_size32 1
		.amdhsa_uses_dynamic_stack 0
		.amdhsa_enable_private_segment 0
		.amdhsa_system_sgpr_workgroup_id_x 1
		.amdhsa_system_sgpr_workgroup_id_y 0
		.amdhsa_system_sgpr_workgroup_id_z 0
		.amdhsa_system_sgpr_workgroup_info 0
		.amdhsa_system_vgpr_workitem_id 0
		.amdhsa_next_free_vgpr 8
		.amdhsa_next_free_sgpr 16
		.amdhsa_named_barrier_count 0
		.amdhsa_reserve_vcc 1
		.amdhsa_float_round_mode_32 0
		.amdhsa_float_round_mode_16_64 0
		.amdhsa_float_denorm_mode_32 3
		.amdhsa_float_denorm_mode_16_64 3
		.amdhsa_fp16_overflow 0
		.amdhsa_memory_ordered 1
		.amdhsa_forward_progress 1
		.amdhsa_inst_pref_size 3
		.amdhsa_round_robin_scheduling 0
		.amdhsa_exception_fp_ieee_invalid_op 0
		.amdhsa_exception_fp_denorm_src 0
		.amdhsa_exception_fp_ieee_div_zero 0
		.amdhsa_exception_fp_ieee_overflow 0
		.amdhsa_exception_fp_ieee_underflow 0
		.amdhsa_exception_fp_ieee_inexact 0
		.amdhsa_exception_int_div_zero 0
	.end_amdhsa_kernel
	.text
.Lfunc_end0:
	.size	_Z20kernelUpdateParticlePfS_PKfS1_iff, .Lfunc_end0-_Z20kernelUpdateParticlePfS_PKfS1_iff
                                        ; -- End function
	.set _Z20kernelUpdateParticlePfS_PKfS1_iff.num_vgpr, 8
	.set _Z20kernelUpdateParticlePfS_PKfS1_iff.num_agpr, 0
	.set _Z20kernelUpdateParticlePfS_PKfS1_iff.numbered_sgpr, 16
	.set _Z20kernelUpdateParticlePfS_PKfS1_iff.num_named_barrier, 0
	.set _Z20kernelUpdateParticlePfS_PKfS1_iff.private_seg_size, 0
	.set _Z20kernelUpdateParticlePfS_PKfS1_iff.uses_vcc, 1
	.set _Z20kernelUpdateParticlePfS_PKfS1_iff.uses_flat_scratch, 0
	.set _Z20kernelUpdateParticlePfS_PKfS1_iff.has_dyn_sized_stack, 0
	.set _Z20kernelUpdateParticlePfS_PKfS1_iff.has_recursion, 0
	.set _Z20kernelUpdateParticlePfS_PKfS1_iff.has_indirect_call, 0
	.section	.AMDGPU.csdata,"",@progbits
; Kernel info:
; codeLenInByte = 324
; TotalNumSgprs: 18
; NumVgprs: 8
; ScratchSize: 0
; MemoryBound: 0
; FloatMode: 240
; IeeeMode: 1
; LDSByteSize: 0 bytes/workgroup (compile time only)
; SGPRBlocks: 0
; VGPRBlocks: 0
; NumSGPRsForWavesPerEU: 18
; NumVGPRsForWavesPerEU: 8
; NamedBarCnt: 0
; Occupancy: 16
; WaveLimiterHint : 0
; COMPUTE_PGM_RSRC2:SCRATCH_EN: 0
; COMPUTE_PGM_RSRC2:USER_SGPR: 2
; COMPUTE_PGM_RSRC2:TRAP_HANDLER: 0
; COMPUTE_PGM_RSRC2:TGID_X_EN: 1
; COMPUTE_PGM_RSRC2:TGID_Y_EN: 0
; COMPUTE_PGM_RSRC2:TGID_Z_EN: 0
; COMPUTE_PGM_RSRC2:TIDIG_COMP_CNT: 0
	.text
	.protected	_Z17kernelUpdatePBestPKfPfS1_i ; -- Begin function _Z17kernelUpdatePBestPKfPfS1_i
	.globl	_Z17kernelUpdatePBestPKfPfS1_i
	.p2align	8
	.type	_Z17kernelUpdatePBestPKfPfS1_i,@function
_Z17kernelUpdatePBestPKfPfS1_i:         ; @_Z17kernelUpdatePBestPKfPfS1_i
; %bb.0:
	s_clause 0x1
	s_load_b32 s2, s[0:1], 0x2c
	s_load_b32 s3, s[0:1], 0x18
	s_bfe_u32 s4, ttmp6, 0x4000c
	s_and_b32 s5, ttmp6, 15
	s_add_co_i32 s4, s4, 1
	s_getreg_b32 s6, hwreg(HW_REG_IB_STS2, 6, 4)
	s_mul_i32 s4, ttmp9, s4
	s_delay_alu instid0(SALU_CYCLE_1) | instskip(SKIP_4) | instid1(SALU_CYCLE_1)
	s_add_co_i32 s5, s5, s4
	s_wait_kmcnt 0x0
	s_and_b32 s2, s2, 0xffff
	s_cmp_eq_u32 s6, 0
	s_cselect_b32 s4, ttmp9, s5
	v_mad_u32 v0, s4, s2, v0
	s_mov_b32 s2, exec_lo
	s_delay_alu instid0(VALU_DEP_1)
	v_cmpx_gt_i32_e64 s3, v0
	s_cbranch_execz .LBB1_154
; %bb.1:
	v_mul_lo_u32 v0, v0, 30
	s_load_b128 s[4:7], s[0:1], 0x0
	s_delay_alu instid0(VALU_DEP_1) | instskip(NEXT) | instid1(VALU_DEP_1)
	v_ashrrev_i32_e32 v1, 31, v0
	v_lshlrev_b64_e32 v[4:5], 2, v[0:1]
	s_wait_kmcnt 0x0
	s_delay_alu instid0(VALU_DEP_1)
	v_add_nc_u64_e32 v[62:63], s[4:5], v[4:5]
	v_add_nc_u64_e32 v[60:61], s[6:7], v[4:5]
	s_clause 0x3
	global_load_b128 v[0:3], v[62:63], off
	global_load_b128 v[4:7], v[62:63], off offset:16
	global_load_b128 v[12:15], v[62:63], off offset:48
	;; [unrolled: 1-line block ×3, first 2 shown]
	s_clause 0x3
	global_load_b128 v[42:45], v[60:61], off offset:48
	global_load_b128 v[38:41], v[60:61], off offset:32
	;; [unrolled: 1-line block ×3, first 2 shown]
	global_load_b128 v[30:33], v[60:61], off
	s_clause 0x3
	global_load_b64 v[28:29], v[62:63], off offset:112
	global_load_b128 v[24:27], v[62:63], off offset:96
	global_load_b128 v[20:23], v[62:63], off offset:80
	global_load_b128 v[16:19], v[62:63], off offset:64
	s_clause 0x3
	global_load_b64 v[58:59], v[60:61], off offset:112
	global_load_b128 v[54:57], v[60:61], off offset:96
	global_load_b128 v[50:53], v[60:61], off offset:80
	;; [unrolled: 1-line block ×3, first 2 shown]
	s_wait_loadcnt 0xf
	s_wait_xcnt 0x4
	v_dual_mov_b32 v62, 1.0 :: v_dual_add_f32 v63, -1.0, v0
	s_delay_alu instid0(VALU_DEP_1) | instskip(NEXT) | instid1(VALU_DEP_1)
	v_fmamk_f32 v62, v63, 0x3e800000, v62
                                        ; implicit-def: $vgpr63
	v_mul_f32_e32 v70, 0x40490e56, v62
                                        ; implicit-def: $vgpr62
	s_delay_alu instid0(VALU_DEP_1) | instskip(SKIP_3) | instid1(SALU_CYCLE_1)
	v_and_b32_e32 v71, 0x7fffffff, v70
	v_cmp_ngt_f32_e64 s12, 0x48000000, |v70|
	s_wait_xcnt 0x0
	s_and_saveexec_b32 s2, s12
	s_xor_b32 s4, exec_lo, s2
	s_cbranch_execz .LBB1_3
; %bb.2:
	s_mov_b32 s2, 0x7fffff
	v_mov_b32_e32 v63, 0
	v_and_or_b32 v62, v71, s2, 0x800000
	s_mov_b64 s[2:3], 0xfe5163ab
	s_delay_alu instid0(VALU_DEP_1) | instid1(SALU_CYCLE_1)
	v_mul_u64_e32 v[64:65], s[2:3], v[62:63]
	s_delay_alu instid0(VALU_DEP_1) | instskip(SKIP_2) | instid1(VALU_DEP_3)
	v_dual_mov_b32 v66, v65 :: v_dual_mov_b32 v67, v63
	v_dual_mov_b32 v69, v63 :: v_dual_mov_b32 v73, v63
	v_dual_mov_b32 v75, v63 :: v_dual_lshrrev_b32 v65, 23, v71
	v_mad_nc_u64_u32 v[66:67], 0x3c439041, v62, v[66:67]
	s_delay_alu instid0(VALU_DEP_1) | instskip(NEXT) | instid1(VALU_DEP_1)
	v_mov_b32_e32 v68, v67
	v_mad_nc_u64_u32 v[68:69], 0xdb629599, v62, v[68:69]
	s_delay_alu instid0(VALU_DEP_1) | instskip(NEXT) | instid1(VALU_DEP_1)
	v_mov_b32_e32 v72, v69
	;; [unrolled: 3-line block ×3, first 2 shown]
	v_mad_nc_u64_u32 v[74:75], 0xfc2757d1, v62, v[74:75]
	s_delay_alu instid0(VALU_DEP_1) | instskip(NEXT) | instid1(VALU_DEP_1)
	v_dual_mov_b32 v77, v63 :: v_dual_mov_b32 v76, v75
	v_mad_nc_u64_u32 v[76:77], 0x4e441529, v62, v[76:77]
	s_delay_alu instid0(VALU_DEP_1) | instskip(NEXT) | instid1(VALU_DEP_1)
	v_dual_mov_b32 v78, v77 :: v_dual_add_nc_u32 v65, 0xffffff88, v65
	v_cmp_lt_u32_e32 vcc_lo, 63, v65
	v_mov_b32_e32 v79, v63
	v_cndmask_b32_e64 v67, 0, 0xffffffc0, vcc_lo
	s_delay_alu instid0(VALU_DEP_2) | instskip(SKIP_2) | instid1(VALU_DEP_4)
	v_mad_nc_u64_u32 v[62:63], 0xa2f9836e, v62, v[78:79]
	v_cndmask_b32_e32 v69, v76, v72, vcc_lo
	v_dual_cndmask_b32 v66, v72, v66 :: v_dual_cndmask_b32 v73, v74, v68
	v_add_nc_u32_e32 v65, v67, v65
	s_delay_alu instid0(VALU_DEP_1) | instskip(SKIP_1) | instid1(VALU_DEP_2)
	v_cmp_lt_u32_e64 s2, 31, v65
	v_dual_cndmask_b32 v62, v62, v74 :: v_dual_cndmask_b32 v63, v63, v76
	v_cndmask_b32_e64 v67, 0, 0xffffffe0, s2
	s_delay_alu instid0(VALU_DEP_1) | instskip(NEXT) | instid1(VALU_DEP_1)
	v_dual_cndmask_b32 v72, v73, v66, s2 :: v_dual_add_nc_u32 v65, v67, v65
	v_cmp_lt_u32_e64 s3, 31, v65
	s_delay_alu instid0(VALU_DEP_1) | instskip(NEXT) | instid1(VALU_DEP_1)
	v_cndmask_b32_e64 v67, 0, 0xffffffe0, s3
	v_add_nc_u32_e32 v65, v67, v65
	v_dual_cndmask_b32 v67, v62, v69, s2 :: v_dual_cndmask_b32 v62, v63, v62, s2
	v_cndmask_b32_e64 v63, v69, v73, s2
	s_delay_alu instid0(VALU_DEP_2) | instskip(NEXT) | instid1(VALU_DEP_2)
	v_dual_sub_nc_u32 v69, 32, v65 :: v_dual_cndmask_b32 v62, v62, v67, s3
	v_dual_cndmask_b32 v67, v67, v63, s3 :: v_dual_cndmask_b32 v64, v68, v64, vcc_lo
	v_cmp_eq_u32_e32 vcc_lo, 0, v65
	s_delay_alu instid0(VALU_DEP_2) | instskip(NEXT) | instid1(VALU_DEP_1)
	v_alignbit_b32 v73, v62, v67, v69
	v_dual_cndmask_b32 v63, v63, v72, s3 :: v_dual_cndmask_b32 v62, v73, v62, vcc_lo
	s_delay_alu instid0(VALU_DEP_1) | instskip(NEXT) | instid1(VALU_DEP_1)
	v_alignbit_b32 v68, v67, v63, v69
	v_dual_cndmask_b32 v65, v68, v67, vcc_lo :: v_dual_cndmask_b32 v64, v66, v64, s2
	s_delay_alu instid0(VALU_DEP_3) | instskip(NEXT) | instid1(VALU_DEP_2)
	v_bfe_u32 v66, v62, 29, 1
	v_alignbit_b32 v67, v62, v65, 30
	s_delay_alu instid0(VALU_DEP_2) | instskip(NEXT) | instid1(VALU_DEP_1)
	v_dual_sub_nc_u32 v68, 0, v66 :: v_dual_cndmask_b32 v64, v72, v64, s3
	v_xor_b32_e32 v67, v67, v68
	s_delay_alu instid0(VALU_DEP_2) | instskip(NEXT) | instid1(VALU_DEP_1)
	v_alignbit_b32 v69, v63, v64, v69
	v_cndmask_b32_e32 v63, v69, v63, vcc_lo
	s_delay_alu instid0(VALU_DEP_3) | instskip(NEXT) | instid1(VALU_DEP_2)
	v_clz_i32_u32_e32 v69, v67
	v_alignbit_b32 v65, v65, v63, 30
	s_delay_alu instid0(VALU_DEP_2) | instskip(SKIP_1) | instid1(VALU_DEP_2)
	v_min_u32_e32 v69, 32, v69
	v_alignbit_b32 v63, v63, v64, 30
	v_dual_sub_nc_u32 v65, 31, v69 :: v_dual_bitop2_b32 v64, v65, v68 bitop3:0x14
	s_delay_alu instid0(VALU_DEP_2) | instskip(SKIP_1) | instid1(VALU_DEP_3)
	v_dual_lshrrev_b32 v68, 29, v62 :: v_dual_bitop2_b32 v63, v63, v68 bitop3:0x14
	v_lshlrev_b32_e32 v72, 23, v69
	v_alignbit_b32 v67, v67, v64, v65
	s_delay_alu instid0(VALU_DEP_3) | instskip(NEXT) | instid1(VALU_DEP_4)
	v_alignbit_b32 v63, v64, v63, v65
	v_lshlrev_b32_e32 v64, 31, v68
	s_delay_alu instid0(VALU_DEP_2) | instskip(NEXT) | instid1(VALU_DEP_2)
	v_alignbit_b32 v65, v67, v63, 9
	v_dual_lshrrev_b32 v67, 9, v67 :: v_dual_bitop2_b32 v68, 0.5, v64 bitop3:0x54
	v_or_b32_e32 v64, 0x33000000, v64
	s_delay_alu instid0(VALU_DEP_3) | instskip(NEXT) | instid1(VALU_DEP_3)
	v_clz_i32_u32_e32 v73, v65
	v_sub_nc_u32_e32 v68, v68, v72
	s_delay_alu instid0(VALU_DEP_2) | instskip(NEXT) | instid1(VALU_DEP_1)
	v_min_u32_e32 v72, 32, v73
	v_add_lshl_u32 v69, v72, v69, 23
	s_delay_alu instid0(VALU_DEP_3) | instskip(SKIP_1) | instid1(VALU_DEP_2)
	v_or_b32_e32 v67, v67, v68
	v_not_b32_e32 v68, v72
	v_dual_mul_f32 v73, 0x3fc90fda, v67 :: v_dual_sub_nc_u32 v64, v64, v69
	s_delay_alu instid0(VALU_DEP_2) | instskip(NEXT) | instid1(VALU_DEP_2)
	v_alignbit_b32 v63, v65, v63, v68
	v_fma_f32 v65, 0x3fc90fda, v67, -v73
	s_delay_alu instid0(VALU_DEP_2) | instskip(NEXT) | instid1(VALU_DEP_2)
	v_lshrrev_b32_e32 v63, 9, v63
	v_fmamk_f32 v65, v67, 0x33a22168, v65
	s_delay_alu instid0(VALU_DEP_2) | instskip(NEXT) | instid1(VALU_DEP_1)
	v_or_b32_e32 v63, v64, v63
	v_fmac_f32_e32 v65, 0x3fc90fda, v63
	s_delay_alu instid0(VALU_DEP_1) | instskip(NEXT) | instid1(VALU_DEP_1)
	v_dual_add_f32 v62, v73, v65 :: v_dual_lshrrev_b32 v63, 30, v62
	v_add_nc_u32_e32 v63, v66, v63
.LBB1_3:
	s_or_saveexec_b32 s2, s4
	s_load_b64 s[6:7], s[0:1], 0x10
	s_xor_b32 exec_lo, exec_lo, s2
; %bb.4:
	v_mul_f32_e64 v62, 0x3f22f983, |v70|
	s_delay_alu instid0(VALU_DEP_1) | instskip(NEXT) | instid1(VALU_DEP_1)
	v_rndne_f32_e32 v63, v62
	v_fma_f32 v62, 0xbfc90fda, v63, |v70|
	s_delay_alu instid0(VALU_DEP_1) | instskip(NEXT) | instid1(VALU_DEP_1)
	v_fmamk_f32 v62, v63, 0xb3a22168, v62
	v_fmamk_f32 v62, v63, 0xa7c234c4, v62
	v_cvt_i32_f32_e32 v63, v63
; %bb.5:
	s_or_b32 exec_lo, exec_lo, s2
	s_wait_loadcnt 0x7
	s_delay_alu instid0(VALU_DEP_2) | instskip(SKIP_3) | instid1(VALU_DEP_2)
	v_dual_mul_f32 v64, v62, v62 :: v_dual_add_f32 v67, -1.0, v29
	s_mov_b32 s13, 0xb94c1982
	v_and_b32_e32 v68, 1, v63
	s_mov_b32 s14, 0x37d75334
	v_fmaak_f32 v65, s13, v64, 0x3c0881c4
	s_mov_b32 s15, 0x3e76c4e1
	s_mov_b64 s[10:11], 1
	v_cmp_eq_u32_e32 vcc_lo, 0, v68
	s_mov_b32 s16, 0x7fffff
	v_fmaak_f32 v65, v64, v65, 0xbe2aaa9d
	v_dual_fmaak_f32 v66, s14, v64, 0xbab64f3b :: v_dual_lshlrev_b32 v63, 30, v63
	s_delay_alu instid0(VALU_DEP_1) | instskip(NEXT) | instid1(VALU_DEP_2)
	v_dual_mul_f32 v65, v64, v65 :: v_dual_fmaak_f32 v66, v64, v66, 0x3d2aabf7
	v_bitop3_b32 v63, v71, v63, 0x80000000 bitop3:0x78
	s_delay_alu instid0(VALU_DEP_2) | instskip(NEXT) | instid1(VALU_DEP_3)
	v_fmac_f32_e32 v62, v62, v65
	v_fmaak_f32 v66, v64, v66, 0xbf000004
	v_fma_f32 v65, 0x3e800000, v67, 1.0
	s_delay_alu instid0(VALU_DEP_2) | instskip(NEXT) | instid1(VALU_DEP_1)
	v_fma_f32 v64, v64, v66, 1.0
	v_cndmask_b32_e32 v62, v64, v62, vcc_lo
	v_cmp_class_f32_e64 vcc_lo, v70, 0x1f8
	s_delay_alu instid0(VALU_DEP_2) | instskip(NEXT) | instid1(VALU_DEP_1)
	v_xor3_b32 v62, v63, v62, v70
	v_dual_add_f32 v66, -1.0, v65 :: v_dual_cndmask_b32 v67, 0x7fc00000, v62
	s_delay_alu instid0(VALU_DEP_1) | instskip(SKIP_2) | instid1(VALU_DEP_4)
	v_frexp_mant_f32_e64 v63, |v66|
	v_cmp_eq_f32_e64 s4, 0, v66
	v_cmp_class_f32_e64 s8, v66, 0x204
	v_frexp_mant_f32_e64 v64, |v67|
	s_wait_xcnt 0x0
	v_cmp_gt_f32_e64 s0, 0x3f2aaaab, v63
	s_delay_alu instid0(VALU_DEP_2) | instskip(NEXT) | instid1(VALU_DEP_2)
	v_cmp_gt_f32_e64 s1, 0x3f2aaaab, v64
	v_cndmask_b32_e64 v62, 1.0, 2.0, s0
	s_delay_alu instid0(VALU_DEP_1) | instskip(NEXT) | instid1(VALU_DEP_3)
	v_mul_f32_e32 v62, v63, v62
	v_cndmask_b32_e64 v63, 1.0, 2.0, s1
	s_delay_alu instid0(VALU_DEP_1) | instskip(SKIP_1) | instid1(VALU_DEP_2)
	v_dual_add_f32 v69, 1.0, v62 :: v_dual_mul_f32 v64, v64, v63
	v_add_f32_e32 v63, -1.0, v62
	v_rcp_f32_e32 v78, v69
	s_delay_alu instid0(VALU_DEP_2) | instskip(SKIP_1) | instid1(VALU_DEP_2)
	v_dual_add_f32 v73, 1.0, v64 :: v_dual_add_f32 v65, -1.0, v64
	v_add_f32_e32 v72, -1.0, v69
	v_rcp_f32_e32 v80, v73
	s_delay_alu instid0(TRANS32_DEP_2) | instid1(VALU_DEP_1)
	v_dual_mul_f32 v79, v63, v78 :: v_dual_sub_f32 v62, v62, v72
	s_delay_alu instid0(VALU_DEP_1)
	v_mul_f32_e32 v68, v69, v79
	s_delay_alu instid0(TRANS32_DEP_1) | instid1(VALU_DEP_1)
	v_dual_mul_f32 v81, v65, v80 :: v_dual_fma_f32 v72, v79, v69, -v68
	s_delay_alu instid0(VALU_DEP_1) | instskip(NEXT) | instid1(VALU_DEP_1)
	v_dual_add_f32 v69, -1.0, v73 :: v_dual_fmac_f32 v72, v79, v62
	v_dual_mul_f32 v74, v73, v81 :: v_dual_add_f32 v62, v68, v72
	s_delay_alu instid0(VALU_DEP_2) | instskip(NEXT) | instid1(VALU_DEP_2)
	v_sub_f32_e32 v64, v64, v69
	v_dual_fma_f32 v76, v81, v73, -v74 :: v_dual_mov_b32 v73, v62
	s_delay_alu instid0(VALU_DEP_1) | instskip(NEXT) | instid1(VALU_DEP_1)
	v_dual_sub_f32 v69, v63, v62 :: v_dual_fmac_f32 v76, v81, v64
	v_pk_add_f32 v[62:63], v[62:63], v[68:69] neg_lo:[0,1] neg_hi:[0,1]
	s_delay_alu instid0(VALU_DEP_2) | instskip(NEXT) | instid1(VALU_DEP_2)
	v_add_f32_e32 v64, v74, v76
	v_pk_add_f32 v[62:63], v[62:63], v[72:73] neg_lo:[0,1] neg_hi:[0,1]
	s_delay_alu instid0(VALU_DEP_2) | instskip(SKIP_1) | instid1(VALU_DEP_3)
	v_dual_sub_f32 v75, v65, v64 :: v_dual_mov_b32 v77, v64
	v_cvt_f64_f32_e64 v[72:73], |v66|
	v_add_f32_e32 v68, v62, v63
	s_delay_alu instid0(VALU_DEP_3) | instskip(NEXT) | instid1(VALU_DEP_1)
	v_pk_add_f32 v[64:65], v[64:65], v[74:75] neg_lo:[0,1] neg_hi:[0,1]
	v_pk_add_f32 v[62:63], v[64:65], v[76:77] neg_lo:[0,1] neg_hi:[0,1]
	s_delay_alu instid0(VALU_DEP_3) | instskip(SKIP_1) | instid1(VALU_DEP_3)
	v_add_f32_e32 v64, v69, v68
	v_cvt_f64_f32_e64 v[76:77], |v67|
	v_add_f32_e32 v62, v62, v63
	s_delay_alu instid0(VALU_DEP_1) | instskip(NEXT) | instid1(VALU_DEP_1)
	v_dual_add_f32 v62, v75, v62 :: v_dual_mul_f32 v63, v78, v64
	v_dual_mul_f32 v65, v80, v62 :: v_dual_add_f32 v64, v79, v63
	s_delay_alu instid0(VALU_DEP_1) | instskip(SKIP_2) | instid1(VALU_DEP_3)
	v_dual_add_f32 v62, v81, v65 :: v_dual_sub_f32 v68, v64, v79
	v_mul_f32_e32 v69, v64, v64
	v_frexp_exp_i32_f64_e32 v86, v[72:73]
	v_dual_sub_f32 v90, v63, v68 :: v_dual_sub_f32 v63, v62, v81
	s_delay_alu instid0(VALU_DEP_3) | instskip(NEXT) | instid1(VALU_DEP_2)
	v_dual_fma_f32 v75, v64, v64, -v69 :: v_dual_mul_f32 v78, v62, v62
	v_dual_add_f32 v68, v90, v90 :: v_dual_sub_f32 v91, v65, v63
	s_delay_alu instid0(VALU_DEP_2) | instskip(SKIP_1) | instid1(VALU_DEP_3)
	v_fma_f32 v63, v62, v62, -v78
	v_frexp_exp_i32_f64_e32 v87, v[76:77]
	v_fmac_f32_e32 v75, v64, v68
	s_delay_alu instid0(VALU_DEP_1) | instskip(NEXT) | instid1(VALU_DEP_1)
	v_add_f32_e32 v68, v69, v75
	v_dual_add_f32 v65, v91, v91 :: v_dual_sub_f32 v69, v68, v69
	s_delay_alu instid0(VALU_DEP_1) | instskip(NEXT) | instid1(VALU_DEP_2)
	v_fmac_f32_e32 v63, v62, v65
	v_dual_fmaak_f32 v65, s15, v68, 0x3e91f4c4 :: v_dual_sub_f32 v84, v75, v69
	s_delay_alu instid0(VALU_DEP_2) | instskip(NEXT) | instid1(VALU_DEP_1)
	v_add_f32_e32 v74, v78, v63
	v_fmaak_f32 v79, s15, v74, 0x3e91f4c4
	s_delay_alu instid0(VALU_DEP_1) | instskip(NEXT) | instid1(VALU_DEP_4)
	v_fmaak_f32 v79, v74, v79, 0x3ecccdef
	v_fmaak_f32 v65, v68, v65, 0x3ecccdef
	s_delay_alu instid0(VALU_DEP_2) | instskip(NEXT) | instid1(VALU_DEP_1)
	v_dual_sub_f32 v75, v74, v78 :: v_dual_mul_f32 v78, v74, v79
	v_dual_mul_f32 v80, v68, v65 :: v_dual_sub_f32 v85, v63, v75
	s_delay_alu instid0(VALU_DEP_1) | instskip(NEXT) | instid1(VALU_DEP_1)
	v_fma_f32 v69, v68, v65, -v80
	v_dual_fmac_f32 v69, v84, v65 :: v_dual_fma_f32 v63, v74, v79, -v78
	s_delay_alu instid0(VALU_DEP_1) | instskip(NEXT) | instid1(VALU_DEP_1)
	v_dual_add_f32 v75, v80, v69 :: v_dual_fmac_f32 v63, v85, v79
	v_dual_sub_f32 v65, v75, v80 :: v_dual_add_f32 v80, v78, v63
	s_delay_alu instid0(VALU_DEP_1) | instskip(NEXT) | instid1(VALU_DEP_2)
	v_sub_f32_e32 v65, v69, v65
	v_dual_add_f32 v79, 0x3f2aaaaa, v75 :: v_dual_sub_f32 v72, v80, v78
	v_add_f32_e32 v73, 0x3f2aaaaa, v80
	s_delay_alu instid0(VALU_DEP_3) | instskip(NEXT) | instid1(VALU_DEP_3)
	v_add_f32_e32 v65, 0x31739010, v65
	v_add_f32_e32 v69, 0xbf2aaaaa, v79
	s_delay_alu instid0(VALU_DEP_3) | instskip(NEXT) | instid1(VALU_DEP_2)
	v_dual_sub_f32 v63, v63, v72 :: v_dual_add_f32 v72, 0xbf2aaaaa, v73
	v_sub_f32_e32 v69, v75, v69
	s_delay_alu instid0(VALU_DEP_2) | instskip(NEXT) | instid1(VALU_DEP_3)
	v_add_f32_e32 v63, 0x31739010, v63
	v_sub_f32_e32 v75, v80, v72
	s_delay_alu instid0(VALU_DEP_3) | instskip(NEXT) | instid1(VALU_DEP_2)
	v_pk_mul_f32 v[76:77], v[64:65], v[68:69]
	v_pk_mul_f32 v[80:81], v[62:63], v[74:75]
	s_delay_alu instid0(VALU_DEP_2) | instskip(NEXT) | instid1(VALU_DEP_2)
	v_fma_f32 v78, v68, v64, -v76
	v_fma_f32 v72, v74, v62, -v80
	s_delay_alu instid0(VALU_DEP_1) | instskip(NEXT) | instid1(VALU_DEP_1)
	v_dual_fmac_f32 v78, v68, v90 :: v_dual_fmac_f32 v72, v74, v91
	v_fmac_f32_e32 v78, v84, v64
	v_pk_add_f32 v[82:83], v[64:65], v[68:69]
	s_delay_alu instid0(VALU_DEP_3) | instskip(SKIP_2) | instid1(VALU_DEP_4)
	v_fmac_f32_e32 v72, v85, v62
	v_pk_add_f32 v[68:69], v[62:63], v[74:75]
	v_subrev_co_ci_u32_e64 v63, null, 0, v86, s0
	v_mov_b32_e32 v77, v83
	v_subrev_co_ci_u32_e64 v65, null, 0, v87, s1
	s_delay_alu instid0(VALU_DEP_4) | instskip(NEXT) | instid1(VALU_DEP_4)
	v_mov_b32_e32 v81, v69
	v_cvt_f32_i32_e32 v63, v63
	s_delay_alu instid0(VALU_DEP_4) | instskip(NEXT) | instid1(VALU_DEP_4)
	v_pk_add_f32 v[74:75], v[76:77], v[78:79]
	v_cvt_f32_i32_e32 v65, v65
	v_cmp_eq_f32_e64 s0, 1.0, v66
	v_pk_add_f32 v[84:85], v[80:81], v[72:73]
	v_mul_f32_e32 v82, 0x3f317218, v63
	v_mov_b32_e32 v68, v75
	v_dual_sub_f32 v77, v79, v75 :: v_dual_sub_f32 v79, v74, v76
	s_delay_alu instid0(VALU_DEP_4) | instskip(SKIP_1) | instid1(VALU_DEP_4)
	v_mov_b32_e32 v86, v85
	v_sub_f32_e32 v73, v73, v85
	v_pk_mul_f32 v[88:89], v[74:75], v[68:69]
	s_delay_alu instid0(VALU_DEP_4) | instskip(NEXT) | instid1(VALU_DEP_4)
	v_add_f32_e32 v81, v83, v77
	v_pk_mul_f32 v[76:77], v[84:85], v[86:87]
	v_dual_sub_f32 v77, v78, v79 :: v_dual_sub_f32 v79, v84, v80
	s_delay_alu instid0(VALU_DEP_4) | instskip(NEXT) | instid1(VALU_DEP_1)
	v_dual_fma_f32 v68, v74, v75, -v88 :: v_dual_add_f32 v69, v69, v73
	v_dual_sub_f32 v73, v72, v79 :: v_dual_fmac_f32 v68, v74, v81
	v_fma_f32 v74, 0x3f317218, v63, -v82
	s_delay_alu instid0(VALU_DEP_2) | instskip(SKIP_2) | instid1(VALU_DEP_3)
	v_fmac_f32_e32 v68, v77, v75
	v_ldexp_f32 v75, v64, 1
	v_fma_f32 v78, v84, v85, -v76
	v_dual_mul_f32 v80, 0x3f317218, v65 :: v_dual_add_f32 v83, v88, v68
	s_delay_alu instid0(VALU_DEP_2) | instskip(NEXT) | instid1(VALU_DEP_2)
	v_dual_mov_b32 v89, v75 :: v_dual_fmac_f32 v78, v84, v69
	v_fma_f32 v72, 0x3f317218, v65, -v80
	s_delay_alu instid0(VALU_DEP_3) | instskip(NEXT) | instid1(VALU_DEP_3)
	v_dual_fmac_f32 v74, 0xb102e308, v63 :: v_dual_mov_b32 v69, v83
	v_dual_mov_b32 v64, v83 :: v_dual_fmac_f32 v78, v73, v85
	v_ldexp_f32 v73, v62, 1
	s_delay_alu instid0(VALU_DEP_4) | instskip(NEXT) | instid1(VALU_DEP_4)
	v_fmac_f32_e32 v72, 0xb102e308, v65
	v_pk_add_f32 v[62:63], v[82:83], v[74:75]
	v_ldexp_f32 v75, v91, 1
	s_delay_alu instid0(VALU_DEP_4) | instskip(NEXT) | instid1(VALU_DEP_3)
	v_dual_mov_b32 v77, v73 :: v_dual_add_f32 v81, v76, v78
	v_mov_b32_e32 v65, v63
	s_delay_alu instid0(VALU_DEP_2) | instskip(SKIP_1) | instid1(VALU_DEP_3)
	v_pk_add_f32 v[84:85], v[80:81], v[72:73]
	v_dual_mov_b32 v86, v81 :: v_dual_mov_b32 v79, v81
	v_pk_add_f32 v[64:65], v[64:65], v[88:89] neg_lo:[0,1] neg_hi:[0,1]
	v_ldexp_f32 v73, v90, 1
	s_delay_alu instid0(VALU_DEP_4) | instskip(SKIP_1) | instid1(VALU_DEP_4)
	v_dual_mov_b32 v87, v85 :: v_dual_mov_b32 v91, v62
	v_mov_b32_e32 v92, v85
	v_pk_add_f32 v[64:65], v[68:69], v[64:65] neg_lo:[0,1] neg_hi:[0,1]
	s_delay_alu instid0(VALU_DEP_3) | instskip(NEXT) | instid1(VALU_DEP_1)
	v_pk_add_f32 v[76:77], v[86:87], v[76:77] neg_lo:[0,1] neg_hi:[0,1]
	v_pk_add_f32 v[68:69], v[78:79], v[76:77] neg_lo:[0,1] neg_hi:[0,1]
	s_delay_alu instid0(VALU_DEP_1) | instskip(NEXT) | instid1(VALU_DEP_1)
	v_add_f32_e32 v68, v75, v68
	v_dual_add_f32 v64, v73, v64 :: v_dual_add_f32 v81, v68, v69
	s_delay_alu instid0(VALU_DEP_1) | instskip(NEXT) | instid1(VALU_DEP_2)
	v_add_f32_e32 v83, v64, v65
	v_pk_add_f32 v[76:77], v[84:85], v[80:81]
	s_delay_alu instid0(VALU_DEP_2) | instskip(SKIP_3) | instid1(VALU_DEP_4)
	v_pk_add_f32 v[64:65], v[62:63], v[82:83]
	v_pk_add_f32 v[68:69], v[62:63], v[82:83] neg_lo:[0,1] neg_hi:[0,1]
	v_pk_add_f32 v[78:79], v[84:85], v[80:81] neg_lo:[0,1] neg_hi:[0,1]
	v_dual_mov_b32 v75, v62 :: v_dual_mov_b32 v73, v84
	v_dual_mov_b32 v79, v77 :: v_dual_mov_b32 v69, v65
	;; [unrolled: 1-line block ×3, first 2 shown]
	s_delay_alu instid0(VALU_DEP_2) | instskip(NEXT) | instid1(VALU_DEP_3)
	v_pk_add_f32 v[88:89], v[72:73], v[78:79]
	v_pk_add_f32 v[86:87], v[74:75], v[68:69]
	v_dual_mov_b32 v82, v63 :: v_dual_mov_b32 v95, v84
	v_pk_add_f32 v[68:69], v[74:75], v[68:69] neg_lo:[0,1] neg_hi:[0,1]
	s_delay_alu instid0(VALU_DEP_3) | instskip(SKIP_2) | instid1(VALU_DEP_3)
	v_dual_mov_b32 v88, v89 :: v_dual_mov_b32 v80, v87
	v_mov_b32_e32 v86, v65
	v_pk_add_f32 v[72:73], v[72:73], v[78:79] neg_lo:[0,1] neg_hi:[0,1]
	v_pk_add_f32 v[74:75], v[88:89], v[84:85] neg_lo:[0,1] neg_hi:[0,1]
	s_delay_alu instid0(VALU_DEP_4) | instskip(NEXT) | instid1(VALU_DEP_2)
	v_pk_add_f32 v[62:63], v[80:81], v[62:63] neg_lo:[0,1] neg_hi:[0,1]
	v_dual_mov_b32 v88, v77 :: v_dual_mov_b32 v93, v74
	s_delay_alu instid0(VALU_DEP_2) | instskip(SKIP_1) | instid1(VALU_DEP_3)
	v_dual_mov_b32 v69, v74 :: v_dual_mov_b32 v63, v62
	v_mov_b32_e32 v83, v62
	v_pk_add_f32 v[74:75], v[88:89], v[92:93] neg_lo:[0,1] neg_hi:[0,1]
	s_delay_alu instid0(VALU_DEP_3) | instskip(NEXT) | instid1(VALU_DEP_4)
	v_pk_add_f32 v[76:77], v[76:77], v[68:69] neg_lo:[0,1] neg_hi:[0,1]
	v_pk_add_f32 v[62:63], v[64:65], v[62:63] neg_lo:[0,1] neg_hi:[0,1]
	s_delay_alu instid0(VALU_DEP_4) | instskip(SKIP_3) | instid1(VALU_DEP_4)
	v_pk_add_f32 v[64:65], v[86:87], v[82:83] neg_lo:[0,1] neg_hi:[0,1]
	v_dual_mov_b32 v62, v68 :: v_dual_mov_b32 v76, v72
	v_pk_add_f32 v[74:75], v[94:95], v[74:75] neg_lo:[0,1] neg_hi:[0,1]
	v_dual_mov_b32 v88, v87 :: v_dual_mov_b32 v69, v87
	v_pk_add_f32 v[64:65], v[90:91], v[64:65] neg_lo:[0,1] neg_hi:[0,1]
	s_delay_alu instid0(VALU_DEP_3) | instskip(NEXT) | instid1(VALU_DEP_2)
	v_pk_add_f32 v[76:77], v[76:77], v[74:75]
	v_pk_add_f32 v[62:63], v[62:63], v[64:65]
	s_delay_alu instid0(VALU_DEP_2) | instskip(NEXT) | instid1(VALU_DEP_2)
	v_dual_mov_b32 v79, v76 :: v_dual_mov_b32 v81, v77
	v_dual_mov_b32 v78, v62 :: v_dual_mov_b32 v80, v63
	s_delay_alu instid0(VALU_DEP_1) | instskip(NEXT) | instid1(VALU_DEP_1)
	v_pk_add_f32 v[80:81], v[78:79], v[80:81]
	v_pk_add_f32 v[82:83], v[88:89], v[80:81]
	v_dual_mov_b32 v73, v89 :: v_dual_mov_b32 v75, v81
	s_delay_alu instid0(VALU_DEP_2) | instskip(NEXT) | instid1(VALU_DEP_1)
	v_dual_mov_b32 v77, v83 :: v_dual_mov_b32 v63, v82
	v_pk_add_f32 v[76:77], v[76:77], v[72:73] neg_lo:[0,1] neg_hi:[0,1]
	s_delay_alu instid0(VALU_DEP_2) | instskip(SKIP_1) | instid1(VALU_DEP_2)
	v_pk_add_f32 v[62:63], v[62:63], v[68:69] neg_lo:[0,1] neg_hi:[0,1]
	v_dual_mov_b32 v65, v80 :: v_dual_mov_b32 v69, v72
	v_dual_mov_b32 v81, v76 :: v_dual_mov_b32 v80, v62
	s_delay_alu instid0(VALU_DEP_2) | instskip(SKIP_1) | instid1(VALU_DEP_3)
	v_pk_add_f32 v[62:63], v[64:65], v[62:63] neg_lo:[0,1] neg_hi:[0,1]
	v_pk_add_f32 v[64:65], v[74:75], v[76:77] neg_lo:[0,1] neg_hi:[0,1]
	;; [unrolled: 1-line block ×3, first 2 shown]
	s_delay_alu instid0(VALU_DEP_2) | instskip(NEXT) | instid1(VALU_DEP_4)
	v_dual_mov_b32 v74, v62 :: v_dual_mov_b32 v75, v64
	v_mov_b32_e32 v64, v63
	s_delay_alu instid0(VALU_DEP_3) | instskip(NEXT) | instid1(VALU_DEP_1)
	v_pk_add_f32 v[68:69], v[68:69], v[72:73] neg_lo:[0,1] neg_hi:[0,1]
	v_pk_add_f32 v[62:63], v[74:75], v[68:69]
	s_delay_alu instid0(VALU_DEP_1) | instskip(SKIP_2) | instid1(VALU_DEP_3)
	v_pk_add_f32 v[62:63], v[62:63], v[64:65]
	v_cndmask_b32_e64 v64, 2.0, 1.0, s0
	v_cmp_eq_f32_e64 s0, 1.0, v67
	v_pk_add_f32 v[68:69], v[82:83], v[62:63]
	s_delay_alu instid0(VALU_DEP_2) | instskip(NEXT) | instid1(VALU_DEP_2)
	v_cndmask_b32_e64 v65, 2.0, 1.0, s0
	v_pk_add_f32 v[72:73], v[68:69], v[82:83] neg_lo:[0,1] neg_hi:[0,1]
	s_delay_alu instid0(VALU_DEP_2) | instskip(SKIP_1) | instid1(VALU_DEP_3)
	v_pk_mul_f32 v[74:75], v[64:65], v[68:69]
	v_trunc_f32_e32 v84, v65
	v_pk_add_f32 v[62:63], v[62:63], v[72:73] neg_lo:[0,1] neg_hi:[0,1]
	v_trunc_f32_e32 v72, v64
	s_delay_alu instid0(VALU_DEP_4) | instskip(SKIP_2) | instid1(VALU_DEP_3)
	v_dual_fma_f32 v69, v65, v69, -v75 :: v_dual_fma_f32 v76, v64, v68, -v74
	v_cmp_class_f32_e64 s0, v75, 0x204
	v_cmp_eq_f32_e64 s1, v84, v65
	v_dual_fmac_f32 v69, v65, v63 :: v_dual_fmac_f32 v76, v64, v62
	s_delay_alu instid0(VALU_DEP_1) | instskip(NEXT) | instid1(VALU_DEP_1)
	v_dual_add_f32 v62, v75, v69 :: v_dual_add_f32 v77, v74, v76
	v_cndmask_b32_e64 v78, v62, v75, s0
	v_cmp_class_f32_e64 s0, v74, 0x204
	s_delay_alu instid0(VALU_DEP_1) | instskip(NEXT) | instid1(VALU_DEP_3)
	v_cndmask_b32_e64 v79, v77, v74, s0
	v_cmp_eq_f32_e64 s0, 0x42b17218, v78
	s_delay_alu instid0(VALU_DEP_2) | instskip(NEXT) | instid1(VALU_DEP_2)
	v_cmp_class_f32_e64 s2, v79, 0x204
	v_cndmask_b32_e64 v63, 0, 0x37000000, s0
	v_cmp_eq_f32_e64 s0, 0x42b17218, v79
	s_delay_alu instid0(VALU_DEP_1) | instskip(NEXT) | instid1(VALU_DEP_3)
	v_cndmask_b32_e64 v68, 0, 0x37000000, s0
	v_sub_f32_e32 v80, v78, v63
	v_cmp_eq_f32_e64 s0, v72, v64
	v_pk_mul_f32 v[72:73], v[64:65], 0.5 op_sel_hi:[1,0]
	s_delay_alu instid0(VALU_DEP_4) | instskip(NEXT) | instid1(VALU_DEP_1)
	v_sub_f32_e32 v81, v79, v68
	v_dual_mul_f32 v82, 0x3fb8aa3b, v80 :: v_dual_mul_f32 v83, 0x3fb8aa3b, v81
	s_delay_alu instid0(VALU_DEP_1) | instskip(SKIP_1) | instid1(VALU_DEP_3)
	v_fma_f32 v85, 0x3fb8aa3b, v80, -v82
	v_rndne_f32_e32 v86, v82
	v_fma_f32 v87, 0x3fb8aa3b, v81, -v83
	s_delay_alu instid0(VALU_DEP_2) | instskip(SKIP_1) | instid1(VALU_DEP_3)
	v_dual_fmac_f32 v85, 0x32a5705f, v80 :: v_dual_sub_f32 v64, v82, v86
	v_rndne_f32_e32 v88, v83
	v_fmac_f32_e32 v87, 0x32a5705f, v81
	s_delay_alu instid0(VALU_DEP_2) | instskip(SKIP_3) | instid1(VALU_DEP_4)
	v_dual_add_f32 v64, v64, v85 :: v_dual_sub_f32 v82, v83, v88
	v_sub_f32_e32 v65, v77, v74
	v_trunc_f32_e32 v77, v72
	v_trunc_f32_e32 v83, v73
	v_exp_f32_e32 v64, v64
	v_add_f32_e32 v74, v82, v87
	v_dual_sub_f32 v62, v62, v75 :: v_dual_sub_f32 v65, v76, v65
	v_cvt_i32_f32_e32 v75, v86
	v_cvt_i32_f32_e32 v76, v88
	s_delay_alu instid0(VALU_DEP_4) | instskip(SKIP_1) | instid1(VALU_DEP_3)
	v_exp_f32_e32 v74, v74
	v_cmp_neq_f32_e64 s3, v77, v72
	v_ldexp_f32 v64, v64, v75
	v_sub_f32_e32 v69, v69, v62
	v_cndmask_b32_e64 v62, v65, 0, s2
	v_cmp_class_f32_e64 s2, v78, 0x204
	s_delay_alu instid0(TRANS32_DEP_1) | instskip(SKIP_3) | instid1(VALU_DEP_2)
	v_ldexp_f32 v65, v74, v76
	s_and_b32 s3, s0, s3
	v_cndmask_b32_e64 v69, v69, 0, s2
	v_cmp_ngt_f32_e64 s2, 0xc2ce8ed0, v80
	v_pk_add_f32 v[62:63], v[62:63], v[68:69]
	s_delay_alu instid0(VALU_DEP_2) | instskip(SKIP_2) | instid1(VALU_DEP_2)
	v_cndmask_b32_e64 v64, 0, v64, s2
	v_cmp_ngt_f32_e64 s2, 0xc2ce8ed0, v81
	v_cndmask_b32_e64 v68, 0x7f800000, 0, s4
	v_cndmask_b32_e64 v74, 0, v65, s2
	v_cmp_nlt_f32_e64 s2, 0x42b17218, v80
	s_delay_alu instid0(VALU_DEP_1) | instskip(SKIP_1) | instid1(VALU_DEP_2)
	v_cndmask_b32_e64 v65, 0x7f800000, v64, s2
	v_cmp_nlt_f32_e64 s2, 0x42b17218, v81
	v_cmp_class_f32_e64 s5, v65, 0x204
	s_delay_alu instid0(VALU_DEP_2) | instskip(SKIP_1) | instid1(VALU_DEP_2)
	v_cndmask_b32_e64 v64, 0x7f800000, v74, s2
	v_cmp_neq_f32_e64 s2, v83, v73
	v_pk_fma_f32 v[62:63], v[64:65], v[62:63], v[64:65]
	v_cndmask_b32_e64 v72, 1.0, v66, s3
	s_and_b32 s2, s1, s2
	s_delay_alu instid0(VALU_DEP_2) | instid1(SALU_CYCLE_1)
	v_dual_cndmask_b32 v69, 1.0, v67, s2 :: v_dual_cndmask_b32 v63, v63, v65, s5
	v_cmp_class_f32_e64 s5, v64, 0x204
	v_cndmask_b32_e64 v65, 0, v67, s2
	v_cmp_class_f32_e64 s2, v67, 0x204
	s_delay_alu instid0(VALU_DEP_4) | instskip(NEXT) | instid1(VALU_DEP_4)
	v_bfi_b32 v63, 0x7fffffff, v63, v69
	v_cndmask_b32_e64 v62, v62, v64, s5
	v_cmp_eq_f32_e64 s5, 0, v67
	s_delay_alu instid0(VALU_DEP_2) | instskip(NEXT) | instid1(VALU_DEP_2)
	v_bfi_b32 v62, 0x7fffffff, v62, v72
	v_cndmask_b32_e64 v64, 0x7f800000, 0, s5
	v_cndmask_b32_e64 v72, 0x7fc00000, v63, s1
	s_delay_alu instid0(VALU_DEP_2) | instskip(NEXT) | instid1(VALU_DEP_4)
	v_bfi_b32 v64, 0x7fffffff, v64, v65
	v_cndmask_b32_e64 v65, 0x7fc00000, v62, s0
	v_cmp_gt_f32_e64 s0, 0, v67
	s_delay_alu instid0(VALU_DEP_1) | instskip(SKIP_1) | instid1(VALU_DEP_2)
	v_dual_cndmask_b32 v69, 0, v66, s3 :: v_dual_cndmask_b32 v63, v63, v72, s0
	v_cmp_gt_f32_e64 s0, 0, v66
	v_bfi_b32 v68, 0x7fffffff, v68, v69
	s_delay_alu instid0(VALU_DEP_2) | instskip(SKIP_1) | instid1(SALU_CYCLE_1)
	v_cndmask_b32_e64 v62, v62, v65, s0
	s_or_b32 s0, s5, s2
	v_dual_mov_b32 v65, 0 :: v_dual_cndmask_b32 v63, v63, v64, s0
	s_or_b32 s0, s8, s4
	s_mov_b64 s[8:9], 0xfe5163ab
	v_cndmask_b32_e64 v62, v62, v68, s0
	v_cmp_o_f32_e64 s0, v67, v67
	s_delay_alu instid0(VALU_DEP_1) | instskip(SKIP_1) | instid1(VALU_DEP_1)
	v_cndmask_b32_e64 v63, 0x7fc00000, v63, s0
	v_cmp_o_f32_e64 s0, v66, v66
	v_cndmask_b32_e64 v62, 0x7fc00000, v62, s0
	s_delay_alu instid0(VALU_DEP_1)
	v_add_f32_e32 v63, v62, v63
	s_branch .LBB1_7
.LBB1_6:                                ;   in Loop: Header=BB1_7 Depth=1
	s_or_b32 exec_lo, exec_lo, s0
	s_delay_alu instid0(VALU_DEP_1) | instskip(NEXT) | instid1(VALU_DEP_2)
	v_dual_mul_f32 v69, v64, v64 :: v_dual_bitop2_b32 v67, v67, v66 bitop3:0x14
	v_and_b32_e32 v74, 1, v68
	s_add_co_i32 m0, s10, -1
	s_add_nc_u64 s[10:11], s[10:11], 1
	s_delay_alu instid0(VALU_DEP_2) | instskip(SKIP_2) | instid1(VALU_DEP_3)
	v_fmaak_f32 v72, s13, v69, 0x3c0881c4
	v_lshlrev_b32_e32 v68, 30, v68
	v_cmp_eq_u32_e64 s0, 0, v74
	v_fmaak_f32 v72, v69, v72, 0xbe2aaa9d
	v_fmaak_f32 v73, s14, v69, 0xbab64f3b
	s_delay_alu instid0(VALU_DEP_4) | instskip(NEXT) | instid1(VALU_DEP_2)
	v_and_b32_e32 v68, 0x80000000, v68
	v_dual_mul_f32 v72, v69, v72 :: v_dual_fmaak_f32 v73, v69, v73, 0x3d2aabf7
	s_delay_alu instid0(VALU_DEP_1) | instskip(SKIP_1) | instid1(VALU_DEP_2)
	v_dual_fmac_f32 v64, v64, v72 :: v_dual_fmaak_f32 v73, v69, v73, 0xbf000004
	v_movrels_b32_e32 v72, v0
	v_fma_f32 v69, v69, v73, 1.0
	s_delay_alu instid0(VALU_DEP_1) | instskip(SKIP_1) | instid1(VALU_DEP_2)
	v_cndmask_b32_e64 v64, v69, v64, s0
	v_cmp_class_f32_e64 s0, v66, 0x1f8
	v_xor3_b32 v64, v67, v68, v64
	s_delay_alu instid0(VALU_DEP_1) | instskip(NEXT) | instid1(VALU_DEP_1)
	v_cndmask_b32_e64 v64, 0x7fc00000, v64, s0
	v_frexp_mant_f32_e64 v66, |v64|
	s_delay_alu instid0(VALU_DEP_1) | instskip(NEXT) | instid1(VALU_DEP_1)
	v_cmp_gt_f32_e64 s0, 0x3f2aaaab, v66
	v_cndmask_b32_e64 v68, 1.0, 2.0, s0
	s_delay_alu instid0(VALU_DEP_1) | instskip(NEXT) | instid1(VALU_DEP_1)
	v_mul_f32_e32 v66, v66, v68
	v_add_f32_e32 v73, 1.0, v66
	s_delay_alu instid0(VALU_DEP_1) | instskip(SKIP_1) | instid1(VALU_DEP_1)
	v_rcp_f32_e32 v82, v73
	v_dual_add_f32 v69, -1.0, v72 :: v_dual_add_f32 v77, -1.0, v73
	v_fma_f32 v67, 0x3e800000, v69, 1.0
	s_delay_alu instid0(VALU_DEP_1) | instskip(NEXT) | instid1(VALU_DEP_1)
	v_add_f32_e32 v72, -1.0, v67
	v_frexp_mant_f32_e64 v67, |v72|
	v_cmp_class_f32_e64 s17, v72, 0x204
	s_delay_alu instid0(VALU_DEP_2) | instskip(NEXT) | instid1(VALU_DEP_1)
	v_cmp_gt_f32_e64 s1, 0x3f2aaaab, v67
	v_cndmask_b32_e64 v69, 1.0, 2.0, s1
	s_delay_alu instid0(VALU_DEP_1) | instskip(NEXT) | instid1(VALU_DEP_1)
	v_mul_f32_e32 v68, v67, v69
	v_dual_add_f32 v75, 1.0, v68 :: v_dual_add_f32 v67, -1.0, v66
	v_dual_add_f32 v69, -1.0, v68 :: v_dual_sub_f32 v66, v66, v77
	s_delay_alu instid0(VALU_DEP_2) | instskip(NEXT) | instid1(VALU_DEP_2)
	v_rcp_f32_e32 v83, v75
	v_dual_mul_f32 v84, v67, v82 :: v_dual_add_f32 v79, -1.0, v75
	s_delay_alu instid0(VALU_DEP_1) | instskip(NEXT) | instid1(TRANS32_DEP_1)
	v_mul_f32_e32 v74, v73, v84
	v_mul_f32_e32 v85, v69, v83
	s_delay_alu instid0(VALU_DEP_1) | instskip(NEXT) | instid1(VALU_DEP_1)
	v_dual_sub_f32 v68, v68, v79 :: v_dual_mul_f32 v76, v75, v85
	v_dual_fma_f32 v78, v84, v73, -v74 :: v_dual_fma_f32 v80, v85, v75, -v76
	s_delay_alu instid0(VALU_DEP_1) | instskip(NEXT) | instid1(VALU_DEP_1)
	v_dual_fmac_f32 v78, v84, v66 :: v_dual_fmac_f32 v80, v85, v68
	v_dual_add_f32 v66, v74, v78 :: v_dual_add_f32 v68, v76, v80
	s_delay_alu instid0(VALU_DEP_1) | instskip(NEXT) | instid1(VALU_DEP_2)
	v_dual_sub_f32 v75, v67, v66 :: v_dual_mov_b32 v79, v66
	v_dual_mov_b32 v81, v68 :: v_dual_sub_f32 v77, v69, v68
	s_delay_alu instid0(VALU_DEP_2) | instskip(NEXT) | instid1(VALU_DEP_2)
	v_pk_add_f32 v[66:67], v[66:67], v[74:75] neg_lo:[0,1] neg_hi:[0,1]
	v_pk_add_f32 v[68:69], v[68:69], v[76:77] neg_lo:[0,1] neg_hi:[0,1]
	s_delay_alu instid0(VALU_DEP_2) | instskip(NEXT) | instid1(VALU_DEP_2)
	v_pk_add_f32 v[66:67], v[66:67], v[78:79] neg_lo:[0,1] neg_hi:[0,1]
	v_pk_add_f32 v[68:69], v[68:69], v[80:81] neg_lo:[0,1] neg_hi:[0,1]
	s_delay_alu instid0(VALU_DEP_2) | instskip(SKIP_1) | instid1(VALU_DEP_2)
	v_add_f32_e32 v66, v66, v67
	v_cvt_f64_f32_e64 v[80:81], |v64|
	v_dual_add_f32 v67, v68, v69 :: v_dual_add_f32 v66, v75, v66
	s_delay_alu instid0(VALU_DEP_1) | instskip(NEXT) | instid1(VALU_DEP_1)
	v_dual_add_f32 v67, v77, v67 :: v_dual_mul_f32 v69, v82, v66
	v_dual_mul_f32 v67, v83, v67 :: v_dual_add_f32 v68, v84, v69
	s_delay_alu instid0(VALU_DEP_1) | instskip(NEXT) | instid1(VALU_DEP_1)
	v_dual_add_f32 v66, v85, v67 :: v_dual_sub_f32 v73, v68, v84
	v_dual_sub_f32 v74, v66, v85 :: v_dual_mul_f32 v77, v68, v68
	s_delay_alu instid0(VALU_DEP_2) | instskip(NEXT) | instid1(VALU_DEP_2)
	v_dual_sub_f32 v73, v69, v73 :: v_dual_mul_f32 v69, v66, v66
	v_dual_sub_f32 v96, v67, v74 :: v_dual_fma_f32 v67, v68, v68, -v77
	s_delay_alu instid0(VALU_DEP_2) | instskip(SKIP_1) | instid1(VALU_DEP_3)
	v_dual_add_f32 v76, v73, v73 :: v_dual_fma_f32 v79, v66, v66, -v69
	v_cvt_f64_f32_e64 v[74:75], |v72|
	v_add_f32_e32 v78, v96, v96
	v_frexp_exp_i32_f64_e32 v90, v[80:81]
	s_delay_alu instid0(VALU_DEP_2) | instskip(NEXT) | instid1(VALU_DEP_1)
	v_fmac_f32_e32 v79, v66, v78
	v_dual_fmac_f32 v67, v68, v76 :: v_dual_add_f32 v78, v69, v79
	s_delay_alu instid0(VALU_DEP_1) | instskip(NEXT) | instid1(VALU_DEP_1)
	v_dual_add_f32 v76, v77, v67 :: v_dual_fmaak_f32 v83, s15, v78, 0x3e91f4c4
	v_fmaak_f32 v82, s15, v76, 0x3e91f4c4
	s_delay_alu instid0(VALU_DEP_1) | instskip(SKIP_1) | instid1(VALU_DEP_2)
	v_dual_fmaak_f32 v83, v78, v83, 0x3ecccdef :: v_dual_fmaak_f32 v82, v76, v82, 0x3ecccdef
	v_sub_f32_e32 v77, v76, v77
	v_dual_sub_f32 v69, v78, v69 :: v_dual_mul_f32 v85, v78, v83
	s_delay_alu instid0(VALU_DEP_2) | instskip(NEXT) | instid1(VALU_DEP_2)
	v_dual_mul_f32 v84, v76, v82 :: v_dual_sub_f32 v88, v67, v77
	v_dual_sub_f32 v89, v79, v69 :: v_dual_fma_f32 v69, v78, v83, -v85
	s_delay_alu instid0(VALU_DEP_1) | instskip(NEXT) | instid1(VALU_DEP_1)
	v_dual_fma_f32 v67, v76, v82, -v84 :: v_dual_fmac_f32 v69, v89, v83
	v_fmac_f32_e32 v67, v88, v82
	v_frexp_exp_i32_f64_e32 v82, v[74:75]
	s_delay_alu instid0(VALU_DEP_2) | instskip(NEXT) | instid1(VALU_DEP_1)
	v_dual_add_f32 v79, v85, v69 :: v_dual_add_f32 v74, v84, v67
	v_add_f32_e32 v83, 0x3f2aaaaa, v79
	s_delay_alu instid0(VALU_DEP_2) | instskip(SKIP_1) | instid1(VALU_DEP_3)
	v_dual_sub_f32 v77, v74, v84 :: v_dual_sub_f32 v84, v79, v85
	v_add_f32_e32 v75, 0x3f2aaaaa, v74
	v_add_f32_e32 v81, 0xbf2aaaaa, v83
	s_delay_alu instid0(VALU_DEP_3) | instskip(NEXT) | instid1(VALU_DEP_3)
	v_dual_sub_f32 v67, v67, v77 :: v_dual_sub_f32 v80, v69, v84
	v_add_f32_e32 v77, 0xbf2aaaaa, v75
	s_delay_alu instid0(VALU_DEP_3) | instskip(NEXT) | instid1(VALU_DEP_2)
	v_sub_f32_e32 v79, v79, v81
	v_sub_f32_e32 v77, v74, v77
	s_delay_alu instid0(VALU_DEP_4) | instskip(SKIP_1) | instid1(VALU_DEP_2)
	v_add_f32_e32 v69, 0x31739010, v67
	v_add_f32_e32 v67, 0x31739010, v80
	v_pk_mul_f32 v[80:81], v[68:69], v[76:77]
	s_delay_alu instid0(VALU_DEP_1) | instskip(NEXT) | instid1(VALU_DEP_3)
	v_fma_f32 v74, v76, v68, -v80
	v_pk_mul_f32 v[84:85], v[66:67], v[78:79]
	v_subrev_co_ci_u32_e64 v81, null, 0, v82, s1
	s_delay_alu instid0(VALU_DEP_2) | instskip(SKIP_1) | instid1(VALU_DEP_2)
	v_dual_fmac_f32 v74, v76, v73 :: v_dual_fma_f32 v82, v78, v66, -v84
	v_ldexp_f32 v73, v73, 1
	v_fmac_f32_e32 v74, v88, v68
	s_delay_alu instid0(VALU_DEP_3) | instskip(NEXT) | instid1(VALU_DEP_1)
	v_fmac_f32_e32 v82, v78, v96
	v_fmac_f32_e32 v82, v89, v66
	v_pk_add_f32 v[86:87], v[68:69], v[76:77]
	v_pk_add_f32 v[76:77], v[66:67], v[78:79]
	v_cvt_f32_i32_e32 v69, v81
	v_subrev_co_ci_u32_e64 v67, null, 0, v90, s0
	s_delay_alu instid0(VALU_DEP_3) | instskip(NEXT) | instid1(VALU_DEP_3)
	v_dual_mov_b32 v81, v87 :: v_dual_mov_b32 v85, v77
	v_mul_f32_e32 v76, 0x3f317218, v69
	s_delay_alu instid0(VALU_DEP_3) | instskip(SKIP_1) | instid1(VALU_DEP_4)
	v_cvt_f32_i32_e32 v67, v67
	v_cmp_eq_f32_e64 s0, 1.0, v64
	v_pk_add_f32 v[78:79], v[80:81], v[74:75]
	v_pk_add_f32 v[88:89], v[84:85], v[82:83]
	v_fma_f32 v86, 0x3f317218, v69, -v76
	s_delay_alu instid0(VALU_DEP_2) | instskip(NEXT) | instid1(VALU_DEP_3)
	v_dual_mov_b32 v90, v79 :: v_dual_mov_b32 v92, v89
	v_dual_sub_f32 v81, v88, v84 :: v_dual_sub_f32 v75, v75, v79
	v_mul_f32_e32 v94, 0x3f317218, v67
	s_delay_alu instid0(VALU_DEP_3) | instskip(SKIP_3) | instid1(VALU_DEP_4)
	v_pk_mul_f32 v[84:85], v[78:79], v[90:91]
	v_sub_f32_e32 v83, v83, v89
	v_pk_mul_f32 v[90:91], v[88:89], v[92:93]
	v_dual_sub_f32 v85, v78, v80 :: v_dual_add_f32 v75, v87, v75
	v_fma_f32 v80, v78, v79, -v84
	s_delay_alu instid0(VALU_DEP_3) | instskip(NEXT) | instid1(VALU_DEP_3)
	v_dual_add_f32 v77, v77, v83 :: v_dual_fma_f32 v92, v88, v89, -v90
	v_sub_f32_e32 v83, v74, v85
	v_ldexp_f32 v87, v66, 1
	s_delay_alu instid0(VALU_DEP_4) | instskip(SKIP_4) | instid1(VALU_DEP_3)
	v_fmac_f32_e32 v80, v78, v75
	v_sub_f32_e32 v75, v82, v81
	v_fmac_f32_e32 v92, v88, v77
	v_fma_f32 v74, 0x3f317218, v67, -v94
	v_mov_b32_e32 v91, v87
	v_fmac_f32_e32 v92, v75, v89
	v_fmac_f32_e32 v80, v83, v79
	s_delay_alu instid0(VALU_DEP_4) | instskip(SKIP_1) | instid1(VALU_DEP_4)
	v_fmac_f32_e32 v74, 0xb102e308, v67
	v_ldexp_f32 v75, v68, 1
	v_dual_add_f32 v77, v90, v92 :: v_dual_fmac_f32 v86, 0xb102e308, v69
	s_delay_alu instid0(VALU_DEP_2) | instskip(NEXT) | instid1(VALU_DEP_2)
	v_dual_add_f32 v95, v84, v80 :: v_dual_mov_b32 v85, v75
	v_mov_b32_e32 v82, v77
	s_delay_alu instid0(VALU_DEP_3) | instskip(NEXT) | instid1(VALU_DEP_3)
	v_pk_add_f32 v[68:69], v[76:77], v[86:87]
	v_pk_add_f32 v[66:67], v[94:95], v[74:75]
	v_dual_mov_b32 v78, v95 :: v_dual_mov_b32 v81, v95
	s_delay_alu instid0(VALU_DEP_3) | instskip(NEXT) | instid1(VALU_DEP_3)
	v_dual_mov_b32 v93, v77 :: v_dual_mov_b32 v83, v69
	v_mov_b32_e32 v79, v67
	v_ldexp_f32 v75, v96, 1
	v_dual_mov_b32 v87, v68 :: v_dual_mov_b32 v96, v67
	s_delay_alu instid0(VALU_DEP_4) | instskip(NEXT) | instid1(VALU_DEP_4)
	v_pk_add_f32 v[82:83], v[82:83], v[90:91] neg_lo:[0,1] neg_hi:[0,1]
	v_pk_add_f32 v[78:79], v[78:79], v[84:85] neg_lo:[0,1] neg_hi:[0,1]
	v_mov_b32_e32 v101, v66
	s_delay_alu instid0(VALU_DEP_2) | instskip(NEXT) | instid1(VALU_DEP_4)
	v_pk_add_f32 v[78:79], v[80:81], v[78:79] neg_lo:[0,1] neg_hi:[0,1]
	v_pk_add_f32 v[80:81], v[92:93], v[82:83] neg_lo:[0,1] neg_hi:[0,1]
	s_delay_alu instid0(VALU_DEP_2) | instskip(NEXT) | instid1(VALU_DEP_1)
	v_dual_mov_b32 v93, v68 :: v_dual_add_f32 v73, v73, v78
	v_dual_add_f32 v75, v75, v80 :: v_dual_add_f32 v95, v73, v79
	s_delay_alu instid0(VALU_DEP_1) | instskip(NEXT) | instid1(VALU_DEP_2)
	v_dual_add_f32 v77, v75, v81 :: v_dual_mov_b32 v75, v66
	v_pk_add_f32 v[78:79], v[66:67], v[94:95]
	v_pk_add_f32 v[82:83], v[66:67], v[94:95] neg_lo:[0,1] neg_hi:[0,1]
	s_delay_alu instid0(VALU_DEP_3) | instskip(SKIP_1) | instid1(VALU_DEP_4)
	v_pk_add_f32 v[80:81], v[68:69], v[76:77]
	v_pk_add_f32 v[84:85], v[68:69], v[76:77] neg_lo:[0,1] neg_hi:[0,1]
	v_dual_mov_b32 v76, v69 :: v_dual_mov_b32 v83, v79
	s_delay_alu instid0(VALU_DEP_3) | instskip(NEXT) | instid1(VALU_DEP_2)
	v_dual_mov_b32 v92, v77 :: v_dual_mov_b32 v85, v81
	v_pk_add_f32 v[88:89], v[74:75], v[82:83]
	v_pk_add_f32 v[74:75], v[74:75], v[82:83] neg_lo:[0,1] neg_hi:[0,1]
	s_delay_alu instid0(VALU_DEP_3) | instskip(SKIP_2) | instid1(VALU_DEP_3)
	v_pk_add_f32 v[90:91], v[86:87], v[84:85]
	v_mov_b32_e32 v90, v81
	v_pk_add_f32 v[84:85], v[86:87], v[84:85] neg_lo:[0,1] neg_hi:[0,1]
	v_dual_mov_b32 v94, v89 :: v_dual_mov_b32 v98, v91
	s_delay_alu instid0(VALU_DEP_1) | instskip(SKIP_1) | instid1(VALU_DEP_3)
	v_pk_add_f32 v[66:67], v[94:95], v[66:67] neg_lo:[0,1] neg_hi:[0,1]
	v_mov_b32_e32 v88, v79
	v_pk_add_f32 v[68:69], v[98:99], v[68:69] neg_lo:[0,1] neg_hi:[0,1]
	s_delay_alu instid0(VALU_DEP_3) | instskip(NEXT) | instid1(VALU_DEP_2)
	v_dual_mov_b32 v100, v95 :: v_dual_mov_b32 v97, v66
	v_dual_mov_b32 v67, v66 :: v_dual_mov_b32 v69, v68
	v_mov_b32_e32 v77, v68
	s_delay_alu instid0(VALU_DEP_3) | instskip(NEXT) | instid1(VALU_DEP_3)
	v_pk_add_f32 v[82:83], v[88:89], v[96:97] neg_lo:[0,1] neg_hi:[0,1]
	v_pk_add_f32 v[66:67], v[78:79], v[66:67] neg_lo:[0,1] neg_hi:[0,1]
	v_mov_b32_e32 v66, v74
	s_delay_alu instid0(VALU_DEP_4) | instskip(SKIP_3) | instid1(VALU_DEP_4)
	v_pk_add_f32 v[76:77], v[90:91], v[76:77] neg_lo:[0,1] neg_hi:[0,1]
	v_pk_add_f32 v[68:69], v[80:81], v[68:69] neg_lo:[0,1] neg_hi:[0,1]
	;; [unrolled: 1-line block ×3, first 2 shown]
	v_mov_b32_e32 v68, v84
	v_pk_add_f32 v[76:77], v[92:93], v[76:77] neg_lo:[0,1] neg_hi:[0,1]
	s_delay_alu instid0(VALU_DEP_3) | instskip(NEXT) | instid1(VALU_DEP_2)
	v_pk_add_f32 v[66:67], v[66:67], v[78:79]
	v_pk_add_f32 v[68:69], v[68:69], v[76:77]
	s_delay_alu instid0(VALU_DEP_1) | instskip(NEXT) | instid1(VALU_DEP_1)
	v_dual_mov_b32 v80, v67 :: v_dual_mov_b32 v82, v69
	v_pk_add_f32 v[80:81], v[66:67], v[80:81]
	s_delay_alu instid0(VALU_DEP_2) | instskip(NEXT) | instid1(VALU_DEP_2)
	v_pk_add_f32 v[82:83], v[68:69], v[82:83]
	v_pk_add_f32 v[86:87], v[94:95], v[80:81]
	v_mov_b32_e32 v75, v89
	s_delay_alu instid0(VALU_DEP_3) | instskip(NEXT) | instid1(VALU_DEP_3)
	v_pk_add_f32 v[92:93], v[98:99], v[82:83]
	v_dual_mov_b32 v85, v91 :: v_dual_mov_b32 v67, v86
	s_delay_alu instid0(VALU_DEP_2) | instskip(NEXT) | instid1(VALU_DEP_2)
	v_mov_b32_e32 v69, v92
	v_pk_add_f32 v[88:89], v[66:67], v[74:75] neg_lo:[0,1] neg_hi:[0,1]
	v_mov_b32_e32 v79, v80
	s_delay_alu instid0(VALU_DEP_3) | instskip(SKIP_1) | instid1(VALU_DEP_4)
	v_pk_add_f32 v[90:91], v[68:69], v[84:85] neg_lo:[0,1] neg_hi:[0,1]
	v_mov_b32_e32 v77, v82
	v_sub_f32_e32 v69, v66, v88
	s_delay_alu instid0(VALU_DEP_4) | instskip(NEXT) | instid1(VALU_DEP_2)
	v_pk_add_f32 v[66:67], v[78:79], v[88:89] neg_lo:[0,1] neg_hi:[0,1]
	v_dual_sub_f32 v73, v68, v90 :: v_dual_sub_f32 v74, v74, v69
	s_delay_alu instid0(VALU_DEP_4) | instskip(NEXT) | instid1(VALU_DEP_2)
	v_pk_add_f32 v[68:69], v[76:77], v[90:91] neg_lo:[0,1] neg_hi:[0,1]
	v_dual_sub_f32 v73, v84, v73 :: v_dual_add_f32 v66, v66, v74
	s_delay_alu instid0(VALU_DEP_1) | instskip(NEXT) | instid1(VALU_DEP_1)
	v_dual_add_f32 v68, v68, v73 :: v_dual_add_f32 v66, v66, v67
	v_add_f32_e32 v67, v68, v69
	v_cndmask_b32_e64 v69, 2.0, 1.0, s0
	s_delay_alu instid0(VALU_DEP_3) | instskip(SKIP_1) | instid1(VALU_DEP_3)
	v_add_f32_e32 v68, v86, v66
	v_cmp_eq_f32_e64 s0, 1.0, v72
	v_dual_add_f32 v73, v92, v67 :: v_dual_mul_f32 v88, 0.5, v69
	s_delay_alu instid0(VALU_DEP_3) | instskip(NEXT) | instid1(VALU_DEP_3)
	v_dual_sub_f32 v75, v68, v86 :: v_dual_mul_f32 v76, v69, v68
	v_cndmask_b32_e64 v74, 2.0, 1.0, s0
	s_delay_alu instid0(VALU_DEP_3) | instskip(SKIP_1) | instid1(VALU_DEP_4)
	v_sub_f32_e32 v77, v73, v92
	v_trunc_f32_e32 v86, v69
	v_dual_sub_f32 v66, v66, v75 :: v_dual_fma_f32 v68, v69, v68, -v76
	s_delay_alu instid0(VALU_DEP_4) | instskip(NEXT) | instid1(VALU_DEP_4)
	v_mul_f32_e32 v78, v74, v73
	v_sub_f32_e32 v67, v67, v77
	v_cmp_class_f32_e64 s0, v76, 0x204
	v_mul_f32_e32 v82, 0.5, v74
	s_delay_alu instid0(VALU_DEP_4) | instskip(SKIP_3) | instid1(VALU_DEP_4)
	v_dual_fmac_f32 v68, v69, v66 :: v_dual_fma_f32 v73, v74, v73, -v78
	v_trunc_f32_e32 v80, v74
	v_cmp_eq_f32_e64 s2, v86, v69
	v_trunc_f32_e32 v91, v88
	v_add_f32_e32 v66, v76, v68
	s_delay_alu instid0(VALU_DEP_4) | instskip(SKIP_1) | instid1(VALU_DEP_4)
	v_cmp_eq_f32_e64 s1, v80, v74
	v_trunc_f32_e32 v80, v82
	v_cmp_neq_f32_e64 s3, v91, v88
	s_delay_alu instid0(VALU_DEP_4) | instskip(SKIP_4) | instid1(VALU_DEP_2)
	v_cndmask_b32_e64 v75, v66, v76, s0
	v_cmp_class_f32_e64 s0, v78, 0x204
	v_fmac_f32_e32 v73, v74, v67
	v_sub_f32_e32 v66, v66, v76
	s_and_b32 s3, s2, s3
	v_add_f32_e32 v67, v78, v73
	s_delay_alu instid0(VALU_DEP_1) | instskip(SKIP_2) | instid1(VALU_DEP_2)
	v_cndmask_b32_e64 v77, v67, v78, s0
	v_cmp_eq_f32_e64 s0, 0x42b17218, v75
	v_sub_f32_e32 v67, v67, v78
	v_cndmask_b32_e64 v79, 0, 0x37000000, s0
	s_delay_alu instid0(VALU_DEP_4) | instskip(NEXT) | instid1(VALU_DEP_3)
	v_cmp_eq_f32_e64 s0, 0x42b17218, v77
	v_dual_sub_f32 v67, v73, v67 :: v_dual_sub_f32 v66, v68, v66
	s_delay_alu instid0(VALU_DEP_2) | instskip(SKIP_1) | instid1(VALU_DEP_2)
	v_cndmask_b32_e64 v81, 0, 0x37000000, s0
	v_cmp_eq_f32_e64 s0, 0, v72
	v_dual_sub_f32 v85, v77, v81 :: v_dual_sub_f32 v83, v75, v79
	v_cmp_neq_f32_e64 s4, 0x7f800000, |v75|
	s_delay_alu instid0(VALU_DEP_3) | instskip(SKIP_2) | instid1(VALU_DEP_1)
	v_cndmask_b32_e64 v84, 0x7f800000, 0, s0
	s_or_b32 s0, s0, s17
	v_dual_mul_f32 v87, 0x3fb8aa3b, v85 :: v_dual_mul_f32 v74, 0x3fb8aa3b, v83
	v_fma_f32 v69, 0x3fb8aa3b, v85, -v87
	s_delay_alu instid0(VALU_DEP_2) | instskip(SKIP_2) | instid1(VALU_DEP_4)
	v_fma_f32 v89, 0x3fb8aa3b, v83, -v74
	v_rndne_f32_e32 v90, v74
	v_rndne_f32_e32 v86, v87
	v_fmac_f32_e32 v69, 0x32a5705f, v85
	s_delay_alu instid0(VALU_DEP_3) | instskip(NEXT) | instid1(VALU_DEP_3)
	v_dual_fmac_f32 v89, 0x32a5705f, v83 :: v_dual_sub_f32 v74, v74, v90
	v_sub_f32_e32 v87, v87, v86
	v_cvt_i32_f32_e32 v68, v90
	s_delay_alu instid0(VALU_DEP_3) | instskip(NEXT) | instid1(VALU_DEP_3)
	v_add_f32_e32 v74, v74, v89
	v_add_f32_e32 v69, v87, v69
	s_delay_alu instid0(VALU_DEP_2) | instskip(NEXT) | instid1(VALU_DEP_1)
	v_exp_f32_e32 v73, v74
	v_exp_f32_e32 v69, v69
	v_cvt_i32_f32_e32 v74, v86
	s_delay_alu instid0(TRANS32_DEP_2)
	v_ldexp_f32 v68, v73, v68
	s_delay_alu instid0(TRANS32_DEP_1) | instid1(VALU_DEP_2)
	v_ldexp_f32 v69, v69, v74
	v_cndmask_b32_e64 v66, 0, v66, s4
	v_cmp_neq_f32_e64 s4, 0x7f800000, |v77|
	s_delay_alu instid0(VALU_DEP_1) | instskip(SKIP_1) | instid1(VALU_DEP_1)
	v_dual_cndmask_b32 v73, 1.0, v64, s3 :: v_dual_cndmask_b32 v67, 0, v67, s4
	v_cmp_ngt_f32_e64 s4, 0xc2ce8ed0, v83
	v_dual_add_f32 v67, v81, v67 :: v_dual_cndmask_b32 v68, 0, v68, s4
	v_cmp_ngt_f32_e64 s4, 0xc2ce8ed0, v85
	s_delay_alu instid0(VALU_DEP_1) | instskip(SKIP_2) | instid1(VALU_DEP_2)
	v_cndmask_b32_e64 v69, 0, v69, s4
	v_cmp_nlt_f32_e64 s4, 0x42b17218, v83
	v_add_f32_e32 v66, v79, v66
	v_cndmask_b32_e64 v68, 0x7f800000, v68, s4
	v_cmp_nlt_f32_e64 s4, 0x42b17218, v85
	s_delay_alu instid0(VALU_DEP_2) | instskip(NEXT) | instid1(VALU_DEP_2)
	v_fma_f32 v66, v68, v66, v68
	v_cndmask_b32_e64 v69, 0x7f800000, v69, s4
	v_cmp_class_f32_e64 s5, v68, 0x204
	v_cmp_neq_f32_e64 s4, v80, v82
	s_delay_alu instid0(VALU_DEP_2) | instskip(SKIP_2) | instid1(SALU_CYCLE_1)
	v_dual_fma_f32 v67, v69, v67, v69 :: v_dual_cndmask_b32 v66, v66, v68, s5
	v_cmp_class_f32_e64 s5, v69, 0x204
	s_and_b32 s4, s1, s4
	v_cndmask_b32_e64 v68, 1.0, v72, s4
	v_bfi_b32 v66, 0x7fffffff, v66, v73
	v_cndmask_b32_e64 v67, v67, v69, s5
	v_cmp_eq_f32_e64 s5, 0, v64
	v_cndmask_b32_e64 v73, 0, v64, s3
	v_cmp_class_f32_e64 s3, v64, 0x204
	s_delay_alu instid0(VALU_DEP_4) | instskip(NEXT) | instid1(VALU_DEP_4)
	v_bfi_b32 v67, 0x7fffffff, v67, v68
	v_cndmask_b32_e64 v69, 0x7f800000, 0, s5
	v_cndmask_b32_e64 v68, 0x7fc00000, v66, s2
	s_delay_alu instid0(VALU_DEP_2) | instskip(NEXT) | instid1(VALU_DEP_4)
	v_bfi_b32 v69, 0x7fffffff, v69, v73
	v_cndmask_b32_e64 v73, 0x7fc00000, v67, s1
	v_cmp_gt_f32_e64 s1, 0, v64
	s_delay_alu instid0(VALU_DEP_1) | instskip(SKIP_1) | instid1(VALU_DEP_1)
	v_cndmask_b32_e64 v66, v66, v68, s1
	v_cmp_gt_f32_e64 s1, 0, v72
	v_dual_cndmask_b32 v74, 0, v72, s4 :: v_dual_cndmask_b32 v67, v67, v73, s1
	s_delay_alu instid0(VALU_DEP_1) | instskip(SKIP_2) | instid1(VALU_DEP_1)
	v_bfi_b32 v68, 0x7fffffff, v84, v74
	s_or_b32 s1, s5, s3
	s_cmp_lg_u32 s10, 30
	v_dual_cndmask_b32 v67, v67, v68, s0 :: v_dual_cndmask_b32 v66, v66, v69, s1
	v_cmp_o_f32_e64 s0, v72, v72
	s_delay_alu instid0(VALU_DEP_2) | instskip(NEXT) | instid1(VALU_DEP_2)
	v_fma_f32 v66, 0x41200000, v66, 1.0
	v_cndmask_b32_e64 v67, 0x7fc00000, v67, s0
	v_cmp_o_f32_e64 s0, v64, v64
	s_delay_alu instid0(VALU_DEP_1) | instskip(NEXT) | instid1(VALU_DEP_1)
	v_cndmask_b32_e64 v64, 0x7fc00000, v66, s0
	v_fmac_f32_e32 v63, v67, v64
	s_cbranch_scc0 .LBB1_11
.LBB1_7:                                ; =>This Inner Loop Header: Depth=1
	s_mov_b32 m0, s10
                                        ; implicit-def: $vgpr68
	s_mov_b32 s1, exec_lo
	s_wait_loadcnt 0x4
	v_movrels_b32_e32 v64, v0
	s_delay_alu instid0(VALU_DEP_1) | instskip(NEXT) | instid1(VALU_DEP_1)
	v_add_f32_e32 v64, -1.0, v64
	v_fma_f32 v64, 0x3e800000, v64, 1.0
	s_delay_alu instid0(VALU_DEP_1) | instskip(NEXT) | instid1(VALU_DEP_1)
	v_mul_f32_e32 v66, 0x40490e56, v64
                                        ; implicit-def: $vgpr64
	v_and_b32_e32 v67, 0x7fffffff, v66
	v_cmpx_ngt_f32_e64 0x48000000, |v66|
	s_xor_b32 s3, exec_lo, s1
	s_cbranch_execz .LBB1_9
; %bb.8:                                ;   in Loop: Header=BB1_7 Depth=1
	s_delay_alu instid0(VALU_DEP_2) | instskip(SKIP_1) | instid1(VALU_DEP_2)
	v_and_or_b32 v64, v67, s16, 0x800000
	v_mov_b32_e32 v81, v65
	v_mul_u64_e32 v[68:69], s[8:9], v[64:65]
	s_delay_alu instid0(VALU_DEP_1) | instskip(SKIP_1) | instid1(VALU_DEP_2)
	v_dual_mov_b32 v73, v65 :: v_dual_mov_b32 v72, v69
	v_lshrrev_b32_e32 v69, 23, v67
	v_mad_nc_u64_u32 v[72:73], 0x3c439041, v64, v[72:73]
	v_mov_b32_e32 v75, v65
	s_delay_alu instid0(VALU_DEP_3) | instskip(NEXT) | instid1(VALU_DEP_1)
	v_add_nc_u32_e32 v69, 0xffffff88, v69
	v_cmp_lt_u32_e64 s0, 63, v69
	s_delay_alu instid0(VALU_DEP_4) | instskip(NEXT) | instid1(VALU_DEP_2)
	v_mov_b32_e32 v74, v73
	v_cndmask_b32_e64 v73, 0, 0xffffffc0, s0
	s_delay_alu instid0(VALU_DEP_2) | instskip(NEXT) | instid1(VALU_DEP_1)
	v_mad_nc_u64_u32 v[74:75], 0xdb629599, v64, v[74:75]
	v_dual_mov_b32 v77, v65 :: v_dual_mov_b32 v76, v75
	s_delay_alu instid0(VALU_DEP_2) | instskip(NEXT) | instid1(VALU_DEP_2)
	v_cndmask_b32_e64 v68, v74, v68, s0
	v_mad_nc_u64_u32 v[76:77], 0xf534ddc0, v64, v[76:77]
	s_delay_alu instid0(VALU_DEP_1) | instskip(NEXT) | instid1(VALU_DEP_1)
	v_dual_mov_b32 v79, v65 :: v_dual_mov_b32 v78, v77
	v_mad_nc_u64_u32 v[78:79], 0xfc2757d1, v64, v[78:79]
	s_delay_alu instid0(VALU_DEP_1) | instskip(NEXT) | instid1(VALU_DEP_1)
	v_mov_b32_e32 v80, v79
	v_mad_nc_u64_u32 v[80:81], 0x4e441529, v64, v[80:81]
	v_add_nc_u32_e32 v69, v73, v69
	v_mov_b32_e32 v83, v65
	s_delay_alu instid0(VALU_DEP_2) | instskip(NEXT) | instid1(VALU_DEP_4)
	v_cmp_lt_u32_e64 s1, 31, v69
	v_mov_b32_e32 v82, v81
	s_delay_alu instid0(VALU_DEP_2) | instskip(NEXT) | instid1(VALU_DEP_2)
	v_cndmask_b32_e64 v73, 0, 0xffffffe0, s1
	v_mad_nc_u64_u32 v[82:83], 0xa2f9836e, v64, v[82:83]
	s_delay_alu instid0(VALU_DEP_2) | instskip(NEXT) | instid1(VALU_DEP_2)
	v_dual_add_nc_u32 v64, v73, v69 :: v_dual_cndmask_b32 v73, v80, v76, s0
	v_cndmask_b32_e64 v75, v82, v78, s0
	s_delay_alu instid0(VALU_DEP_2) | instskip(NEXT) | instid1(VALU_DEP_4)
	v_cmp_lt_u32_e64 s2, 31, v64
	v_dual_cndmask_b32 v77, v83, v80, s0 :: v_dual_cndmask_b32 v78, v78, v74, s0
	s_delay_alu instid0(VALU_DEP_2) | instskip(NEXT) | instid1(VALU_DEP_1)
	v_cndmask_b32_e64 v69, 0, 0xffffffe0, s2
	v_add_nc_u32_e32 v64, v69, v64
	v_dual_cndmask_b32 v69, v76, v72, s0 :: v_dual_cndmask_b32 v72, v75, v73, s1
	s_delay_alu instid0(VALU_DEP_4) | instskip(NEXT) | instid1(VALU_DEP_3)
	v_cndmask_b32_e64 v75, v77, v75, s1
	v_dual_cndmask_b32 v73, v73, v78, s1 :: v_dual_sub_nc_u32 v76, 32, v64
	s_delay_alu instid0(VALU_DEP_3) | instskip(SKIP_1) | instid1(VALU_DEP_3)
	v_cndmask_b32_e64 v77, v78, v69, s1
	v_cmp_eq_u32_e64 s0, 0, v64
	v_dual_cndmask_b32 v75, v75, v72, s2 :: v_dual_cndmask_b32 v72, v72, v73, s2
	v_cndmask_b32_e64 v68, v69, v68, s1
	s_delay_alu instid0(VALU_DEP_2) | instskip(NEXT) | instid1(VALU_DEP_1)
	v_alignbit_b32 v78, v75, v72, v76
	v_dual_cndmask_b32 v73, v73, v77, s2 :: v_dual_cndmask_b32 v64, v78, v75, s0
	s_delay_alu instid0(VALU_DEP_1) | instskip(NEXT) | instid1(VALU_DEP_1)
	v_alignbit_b32 v74, v72, v73, v76
	v_cndmask_b32_e64 v69, v74, v72, s0
	s_delay_alu instid0(VALU_DEP_3) | instskip(NEXT) | instid1(VALU_DEP_1)
	v_bfe_u32 v72, v64, 29, 1
	v_sub_nc_u32_e32 v75, 0, v72
	s_delay_alu instid0(VALU_DEP_3) | instskip(NEXT) | instid1(VALU_DEP_1)
	v_alignbit_b32 v74, v64, v69, 30
	v_dual_cndmask_b32 v68, v77, v68, s2 :: v_dual_bitop2_b32 v74, v74, v75 bitop3:0x14
	s_delay_alu instid0(VALU_DEP_1) | instskip(NEXT) | instid1(VALU_DEP_1)
	v_alignbit_b32 v76, v73, v68, v76
	v_cndmask_b32_e64 v73, v76, v73, s0
	s_delay_alu instid0(VALU_DEP_3) | instskip(NEXT) | instid1(VALU_DEP_2)
	v_clz_i32_u32_e32 v76, v74
	v_alignbit_b32 v69, v69, v73, 30
	s_delay_alu instid0(VALU_DEP_2) | instskip(SKIP_1) | instid1(VALU_DEP_2)
	v_min_u32_e32 v76, 32, v76
	v_alignbit_b32 v68, v73, v68, 30
	v_dual_sub_nc_u32 v73, 31, v76 :: v_dual_bitop2_b32 v69, v69, v75 bitop3:0x14
	s_delay_alu instid0(VALU_DEP_2) | instskip(SKIP_1) | instid1(VALU_DEP_3)
	v_dual_lshrrev_b32 v75, 29, v64 :: v_dual_bitop2_b32 v68, v68, v75 bitop3:0x14
	v_lshlrev_b32_e32 v77, 23, v76
	v_alignbit_b32 v74, v74, v69, v73
	s_delay_alu instid0(VALU_DEP_3) | instskip(NEXT) | instid1(VALU_DEP_4)
	v_alignbit_b32 v68, v69, v68, v73
	v_lshlrev_b32_e32 v69, 31, v75
	s_delay_alu instid0(VALU_DEP_2) | instskip(NEXT) | instid1(VALU_DEP_2)
	v_alignbit_b32 v73, v74, v68, 9
	v_dual_lshrrev_b32 v74, 9, v74 :: v_dual_bitop2_b32 v75, 0.5, v69 bitop3:0x54
	v_or_b32_e32 v69, 0x33000000, v69
	s_delay_alu instid0(VALU_DEP_3) | instskip(NEXT) | instid1(VALU_DEP_3)
	v_clz_i32_u32_e32 v78, v73
	v_sub_nc_u32_e32 v75, v75, v77
	s_delay_alu instid0(VALU_DEP_2) | instskip(NEXT) | instid1(VALU_DEP_1)
	v_min_u32_e32 v77, 32, v78
	v_add_lshl_u32 v76, v77, v76, 23
	s_delay_alu instid0(VALU_DEP_3) | instskip(SKIP_1) | instid1(VALU_DEP_2)
	v_or_b32_e32 v74, v74, v75
	v_not_b32_e32 v75, v77
	v_dual_mul_f32 v78, 0x3fc90fda, v74 :: v_dual_sub_nc_u32 v69, v69, v76
	s_delay_alu instid0(VALU_DEP_2) | instskip(NEXT) | instid1(VALU_DEP_2)
	v_alignbit_b32 v68, v73, v68, v75
	v_fma_f32 v73, 0x3fc90fda, v74, -v78
	s_delay_alu instid0(VALU_DEP_1) | instskip(NEXT) | instid1(VALU_DEP_1)
	v_dual_fmac_f32 v73, 0x33a22168, v74 :: v_dual_lshrrev_b32 v68, 9, v68
	v_or_b32_e32 v68, v69, v68
	s_delay_alu instid0(VALU_DEP_1) | instskip(SKIP_1) | instid1(VALU_DEP_1)
	v_fmac_f32_e32 v73, 0x3fc90fda, v68
	v_lshrrev_b32_e32 v68, 30, v64
	v_dual_add_nc_u32 v68, v72, v68 :: v_dual_add_f32 v64, v78, v73
.LBB1_9:                                ;   in Loop: Header=BB1_7 Depth=1
	s_and_not1_saveexec_b32 s0, s3
	s_cbranch_execz .LBB1_6
; %bb.10:                               ;   in Loop: Header=BB1_7 Depth=1
	v_mul_f32_e64 v64, 0x3f22f983, |v66|
	s_delay_alu instid0(VALU_DEP_1) | instskip(NEXT) | instid1(VALU_DEP_1)
	v_rndne_f32_e32 v68, v64
	v_fma_f32 v64, 0xbfc90fda, v68, |v66|
	s_delay_alu instid0(VALU_DEP_1) | instskip(NEXT) | instid1(VALU_DEP_1)
	v_fmac_f32_e32 v64, 0xb3a22168, v68
	v_fmac_f32_e32 v64, 0xa7c234c4, v68
	v_cvt_i32_f32_e32 v68, v68
	s_branch .LBB1_6
.LBB1_11:
	v_dual_add_f32 v64, -1.0, v30 :: v_dual_mov_b32 v65, 1.0
                                        ; implicit-def: $vgpr67
                                        ; implicit-def: $vgpr66
	s_mov_b32 s1, exec_lo
	s_delay_alu instid0(VALU_DEP_1) | instskip(NEXT) | instid1(VALU_DEP_1)
	v_fmamk_f32 v64, v64, 0x3e800000, v65
	v_mul_f32_e32 v64, 0x40490e56, v64
	s_delay_alu instid0(VALU_DEP_1)
	v_and_b32_e32 v65, 0x7fffffff, v64
	v_cmpx_ngt_f32_e64 0x48000000, |v64|
	s_xor_b32 s3, exec_lo, s1
	s_cbranch_execz .LBB1_13
; %bb.12:
	s_mov_b32 s0, 0x7fffff
	v_mov_b32_e32 v67, 0
	v_and_or_b32 v66, v65, s0, 0x800000
	s_mov_b64 s[0:1], 0xfe5163ab
	s_delay_alu instid0(VALU_DEP_1) | instid1(SALU_CYCLE_1)
	v_mul_u64_e32 v[68:69], s[0:1], v[66:67]
	s_delay_alu instid0(VALU_DEP_1) | instskip(SKIP_2) | instid1(VALU_DEP_3)
	v_dual_mov_b32 v72, v69 :: v_dual_mov_b32 v73, v67
	v_dual_mov_b32 v75, v67 :: v_dual_mov_b32 v77, v67
	v_dual_mov_b32 v79, v67 :: v_dual_lshrrev_b32 v69, 23, v65
	v_mad_nc_u64_u32 v[72:73], 0x3c439041, v66, v[72:73]
	s_delay_alu instid0(VALU_DEP_1) | instskip(NEXT) | instid1(VALU_DEP_1)
	v_dual_mov_b32 v83, v67 :: v_dual_mov_b32 v74, v73
	v_mad_nc_u64_u32 v[74:75], 0xdb629599, v66, v[74:75]
	s_delay_alu instid0(VALU_DEP_1) | instskip(NEXT) | instid1(VALU_DEP_1)
	v_mov_b32_e32 v76, v75
	v_mad_nc_u64_u32 v[76:77], 0xf534ddc0, v66, v[76:77]
	s_delay_alu instid0(VALU_DEP_1) | instskip(NEXT) | instid1(VALU_DEP_1)
	v_mov_b32_e32 v78, v77
	v_mad_nc_u64_u32 v[78:79], 0xfc2757d1, v66, v[78:79]
	s_delay_alu instid0(VALU_DEP_1) | instskip(NEXT) | instid1(VALU_DEP_1)
	v_dual_mov_b32 v81, v67 :: v_dual_mov_b32 v80, v79
	v_mad_nc_u64_u32 v[80:81], 0x4e441529, v66, v[80:81]
	s_delay_alu instid0(VALU_DEP_1) | instskip(NEXT) | instid1(VALU_DEP_1)
	v_dual_mov_b32 v82, v81 :: v_dual_add_nc_u32 v69, 0xffffff88, v69
	v_cmp_lt_u32_e64 s0, 63, v69
	s_delay_alu instid0(VALU_DEP_2) | instskip(NEXT) | instid1(VALU_DEP_2)
	v_mad_nc_u64_u32 v[66:67], 0xa2f9836e, v66, v[82:83]
	v_cndmask_b32_e64 v73, 0, 0xffffffc0, s0
	s_delay_alu instid0(VALU_DEP_1) | instskip(NEXT) | instid1(VALU_DEP_1)
	v_dual_cndmask_b32 v75, v80, v76, s0 :: v_dual_add_nc_u32 v69, v73, v69
	v_cmp_lt_u32_e64 s1, 31, v69
	s_delay_alu instid0(VALU_DEP_4) | instskip(SKIP_1) | instid1(VALU_DEP_3)
	v_dual_cndmask_b32 v66, v66, v78, s0 :: v_dual_cndmask_b32 v67, v67, v80, s0
	v_cndmask_b32_e64 v72, v76, v72, s0
	v_cndmask_b32_e64 v73, 0, 0xffffffe0, s1
	s_delay_alu instid0(VALU_DEP_1) | instskip(NEXT) | instid1(VALU_DEP_1)
	v_add_nc_u32_e32 v69, v73, v69
	v_cmp_lt_u32_e64 s2, 31, v69
	s_delay_alu instid0(VALU_DEP_1) | instskip(NEXT) | instid1(VALU_DEP_1)
	v_cndmask_b32_e64 v73, 0, 0xffffffe0, s2
	v_dual_cndmask_b32 v77, v78, v74, s0 :: v_dual_add_nc_u32 v69, v73, v69
	v_dual_cndmask_b32 v73, v66, v75, s1 :: v_dual_cndmask_b32 v66, v67, v66, s1
	s_delay_alu instid0(VALU_DEP_2) | instskip(NEXT) | instid1(VALU_DEP_3)
	v_dual_cndmask_b32 v67, v75, v77, s1 :: v_dual_cndmask_b32 v76, v77, v72, s1
	v_sub_nc_u32_e32 v75, 32, v69
	s_delay_alu instid0(VALU_DEP_2) | instskip(SKIP_2) | instid1(VALU_DEP_3)
	v_dual_cndmask_b32 v66, v66, v73, s2 :: v_dual_cndmask_b32 v73, v73, v67, s2
	v_cndmask_b32_e64 v68, v74, v68, s0
	v_cmp_eq_u32_e64 s0, 0, v69
	v_alignbit_b32 v77, v66, v73, v75
	s_delay_alu instid0(VALU_DEP_1) | instskip(NEXT) | instid1(VALU_DEP_1)
	v_dual_cndmask_b32 v67, v67, v76, s2 :: v_dual_cndmask_b32 v66, v77, v66, s0
	v_alignbit_b32 v74, v73, v67, v75
	s_delay_alu instid0(VALU_DEP_1) | instskip(NEXT) | instid1(VALU_DEP_1)
	v_cndmask_b32_e64 v69, v74, v73, s0
	v_alignbit_b32 v73, v66, v69, 30
	v_cndmask_b32_e64 v68, v72, v68, s1
	v_bfe_u32 v72, v66, 29, 1
	s_delay_alu instid0(VALU_DEP_1) | instskip(NEXT) | instid1(VALU_DEP_1)
	v_sub_nc_u32_e32 v74, 0, v72
	v_dual_cndmask_b32 v68, v76, v68, s2 :: v_dual_bitop2_b32 v73, v73, v74 bitop3:0x14
	s_delay_alu instid0(VALU_DEP_1) | instskip(NEXT) | instid1(VALU_DEP_1)
	v_alignbit_b32 v75, v67, v68, v75
	v_cndmask_b32_e64 v67, v75, v67, s0
	s_delay_alu instid0(VALU_DEP_3) | instskip(NEXT) | instid1(VALU_DEP_2)
	v_clz_i32_u32_e32 v75, v73
	v_alignbit_b32 v69, v69, v67, 30
	s_delay_alu instid0(VALU_DEP_2) | instskip(SKIP_1) | instid1(VALU_DEP_2)
	v_min_u32_e32 v75, 32, v75
	v_alignbit_b32 v67, v67, v68, 30
	v_dual_lshlrev_b32 v76, 23, v75 :: v_dual_bitop2_b32 v68, v69, v74 bitop3:0x14
	s_delay_alu instid0(VALU_DEP_2) | instskip(NEXT) | instid1(VALU_DEP_1)
	v_dual_sub_nc_u32 v69, 31, v75 :: v_dual_bitop2_b32 v67, v67, v74 bitop3:0x14
	v_alignbit_b32 v73, v73, v68, v69
	v_lshrrev_b32_e32 v74, 29, v66
	s_delay_alu instid0(VALU_DEP_3) | instskip(NEXT) | instid1(VALU_DEP_1)
	v_alignbit_b32 v67, v68, v67, v69
	v_alignbit_b32 v69, v73, v67, 9
	s_delay_alu instid0(VALU_DEP_3) | instskip(NEXT) | instid1(VALU_DEP_2)
	v_dual_lshrrev_b32 v73, 9, v73 :: v_dual_lshlrev_b32 v68, 31, v74
	v_clz_i32_u32_e32 v77, v69
	s_delay_alu instid0(VALU_DEP_2) | instskip(SKIP_1) | instid1(VALU_DEP_2)
	v_or_b32_e32 v74, 0.5, v68
	v_or_b32_e32 v68, 0x33000000, v68
	v_sub_nc_u32_e32 v74, v74, v76
	s_delay_alu instid0(VALU_DEP_4) | instskip(NEXT) | instid1(VALU_DEP_2)
	v_min_u32_e32 v76, 32, v77
	v_or_b32_e32 v73, v73, v74
	s_delay_alu instid0(VALU_DEP_2) | instskip(SKIP_1) | instid1(VALU_DEP_2)
	v_not_b32_e32 v74, v76
	v_add_lshl_u32 v75, v76, v75, 23
	v_alignbit_b32 v67, v69, v67, v74
	s_delay_alu instid0(VALU_DEP_2) | instskip(NEXT) | instid1(VALU_DEP_2)
	v_sub_nc_u32_e32 v68, v68, v75
	v_lshrrev_b32_e32 v67, 9, v67
	v_mul_f32_e32 v77, 0x3fc90fda, v73
	s_delay_alu instid0(VALU_DEP_2) | instskip(NEXT) | instid1(VALU_DEP_2)
	v_or_b32_e32 v67, v68, v67
	v_fma_f32 v69, 0x3fc90fda, v73, -v77
	s_delay_alu instid0(VALU_DEP_1) | instskip(NEXT) | instid1(VALU_DEP_1)
	v_fmamk_f32 v69, v73, 0x33a22168, v69
	v_fmac_f32_e32 v69, 0x3fc90fda, v67
	s_delay_alu instid0(VALU_DEP_1) | instskip(NEXT) | instid1(VALU_DEP_1)
	v_dual_add_f32 v66, v77, v69 :: v_dual_lshrrev_b32 v67, 30, v66
	v_add_nc_u32_e32 v67, v72, v67
.LBB1_13:
	s_and_not1_saveexec_b32 s0, s3
; %bb.14:
	v_mul_f32_e64 v66, 0x3f22f983, |v64|
	s_delay_alu instid0(VALU_DEP_1) | instskip(NEXT) | instid1(VALU_DEP_1)
	v_rndne_f32_e32 v67, v66
	v_fma_f32 v66, 0xbfc90fda, v67, |v64|
	s_delay_alu instid0(VALU_DEP_1) | instskip(NEXT) | instid1(VALU_DEP_1)
	v_fmamk_f32 v66, v67, 0xb3a22168, v66
	v_fmamk_f32 v66, v67, 0xa7c234c4, v66
	v_cvt_i32_f32_e32 v67, v67
; %bb.15:
	s_or_b32 exec_lo, exec_lo, s0
	s_wait_loadcnt 0x3
	s_delay_alu instid0(VALU_DEP_2) | instskip(SKIP_3) | instid1(VALU_DEP_1)
	v_dual_mul_f32 v68, v66, v66 :: v_dual_add_f32 v73, -1.0, v59
	s_mov_b32 s10, 0xb94c1982
	s_mov_b32 s11, 0x37d75334
	;; [unrolled: 1-line block ×3, first 2 shown]
	v_fmaak_f32 v69, s10, v68, 0x3c0881c4
	s_mov_b32 s14, 0x7fffff
	s_delay_alu instid0(VALU_DEP_1) | instskip(NEXT) | instid1(VALU_DEP_1)
	v_fmaak_f32 v69, v68, v69, 0xbe2aaa9d
	v_dual_fmaak_f32 v72, s11, v68, 0xbab64f3b :: v_dual_mul_f32 v69, v68, v69
	s_delay_alu instid0(VALU_DEP_1) | instskip(SKIP_1) | instid1(VALU_DEP_3)
	v_fmaak_f32 v72, v68, v72, 0x3d2aabf7
	v_dual_lshlrev_b32 v67, 30, v67 :: v_dual_bitop2_b32 v74, 1, v67 bitop3:0x40
	v_fmac_f32_e32 v66, v66, v69
	s_delay_alu instid0(VALU_DEP_3) | instskip(SKIP_1) | instid1(VALU_DEP_4)
	v_fmaak_f32 v72, v68, v72, 0xbf000004
	v_fma_f32 v69, 0x3e800000, v73, 1.0
	v_cmp_eq_u32_e64 s0, 0, v74
	v_and_b32_e32 v67, 0x80000000, v67
	s_delay_alu instid0(VALU_DEP_4) | instskip(NEXT) | instid1(VALU_DEP_1)
	v_fma_f32 v68, v68, v72, 1.0
	v_dual_cndmask_b32 v66, v68, v66, s0 :: v_dual_bitop2_b32 v65, v65, v64 bitop3:0x14
	v_add_f32_e32 v68, -1.0, v69
	v_cmp_class_f32_e64 s0, v64, 0x1f8
	s_delay_alu instid0(VALU_DEP_3) | instskip(NEXT) | instid1(VALU_DEP_3)
	v_xor3_b32 v65, v65, v67, v66
	v_frexp_mant_f32_e64 v66, |v68|
	s_delay_alu instid0(VALU_DEP_2) | instskip(NEXT) | instid1(VALU_DEP_2)
	v_cndmask_b32_e64 v69, 0x7fc00000, v65, s0
	v_cmp_gt_f32_e64 s0, 0x3f2aaaab, v66
	s_delay_alu instid0(VALU_DEP_2) | instskip(NEXT) | instid1(VALU_DEP_2)
	v_frexp_mant_f32_e64 v65, |v69|
	v_cndmask_b32_e64 v64, 1.0, 2.0, s0
	s_delay_alu instid0(VALU_DEP_2) | instskip(NEXT) | instid1(VALU_DEP_2)
	v_cmp_gt_f32_e64 s1, 0x3f2aaaab, v65
	v_mul_f32_e32 v64, v66, v64
	s_delay_alu instid0(VALU_DEP_2) | instskip(NEXT) | instid1(VALU_DEP_2)
	v_cndmask_b32_e64 v66, 1.0, 2.0, s1
	v_add_f32_e32 v73, 1.0, v64
	v_cmp_eq_f32_e64 s4, 0, v68
	v_cmp_class_f32_e64 s8, v68, 0x204
	s_delay_alu instid0(VALU_DEP_4) | instskip(NEXT) | instid1(VALU_DEP_4)
	v_mul_f32_e32 v66, v65, v66
	v_rcp_f32_e32 v80, v73
	v_dual_add_f32 v65, -1.0, v64 :: v_dual_add_f32 v74, -1.0, v73
	s_delay_alu instid0(VALU_DEP_2)
	v_dual_add_f32 v75, 1.0, v66 :: v_dual_add_f32 v67, -1.0, v66
	s_delay_alu instid0(TRANS32_DEP_1) | instid1(VALU_DEP_2)
	v_mul_f32_e32 v81, v65, v80
	s_delay_alu instid0(VALU_DEP_2) | instskip(SKIP_1) | instid1(TRANS32_DEP_1)
	v_rcp_f32_e32 v82, v75
	v_nop
	v_dual_mul_f32 v72, v73, v81 :: v_dual_mul_f32 v83, v67, v82
	s_delay_alu instid0(VALU_DEP_1) | instskip(NEXT) | instid1(VALU_DEP_1)
	v_dual_sub_f32 v64, v64, v74 :: v_dual_fma_f32 v74, v81, v73, -v72
	v_dual_add_f32 v73, -1.0, v75 :: v_dual_fmac_f32 v74, v81, v64
	s_delay_alu instid0(VALU_DEP_1) | instskip(NEXT) | instid1(VALU_DEP_1)
	v_dual_mul_f32 v76, v75, v83 :: v_dual_sub_f32 v66, v66, v73
	v_dual_add_f32 v64, v72, v74 :: v_dual_fma_f32 v78, v83, v75, -v76
	s_delay_alu instid0(VALU_DEP_1) | instskip(NEXT) | instid1(VALU_DEP_1)
	v_dual_sub_f32 v73, v65, v64 :: v_dual_fmac_f32 v78, v83, v66
	v_add_f32_e32 v66, v76, v78
	v_mov_b32_e32 v75, v64
	s_delay_alu instid0(VALU_DEP_3) | instskip(NEXT) | instid1(VALU_DEP_3)
	v_pk_add_f32 v[64:65], v[64:65], v[72:73] neg_lo:[0,1] neg_hi:[0,1]
	v_sub_f32_e32 v77, v67, v66
	s_delay_alu instid0(VALU_DEP_2) | instskip(SKIP_2) | instid1(VALU_DEP_4)
	v_pk_add_f32 v[64:65], v[64:65], v[74:75] neg_lo:[0,1] neg_hi:[0,1]
	v_mov_b32_e32 v79, v66
	v_cvt_f64_f32_e64 v[74:75], |v68|
	v_pk_add_f32 v[66:67], v[66:67], v[76:77] neg_lo:[0,1] neg_hi:[0,1]
	s_delay_alu instid0(VALU_DEP_4) | instskip(NEXT) | instid1(VALU_DEP_2)
	v_add_f32_e32 v72, v64, v65
	v_pk_add_f32 v[64:65], v[66:67], v[78:79] neg_lo:[0,1] neg_hi:[0,1]
	v_cvt_f64_f32_e64 v[78:79], |v69|
	s_delay_alu instid0(VALU_DEP_2) | instskip(NEXT) | instid1(VALU_DEP_1)
	v_dual_add_f32 v66, v73, v72 :: v_dual_add_f32 v64, v64, v65
	v_dual_add_f32 v64, v77, v64 :: v_dual_mul_f32 v65, v80, v66
	s_delay_alu instid0(VALU_DEP_1) | instskip(NEXT) | instid1(VALU_DEP_1)
	v_dual_mul_f32 v67, v82, v64 :: v_dual_add_f32 v66, v81, v65
	v_dual_add_f32 v64, v83, v67 :: v_dual_sub_f32 v72, v66, v81
	s_delay_alu instid0(VALU_DEP_1) | instskip(NEXT) | instid1(VALU_DEP_1)
	v_dual_mul_f32 v73, v66, v66 :: v_dual_sub_f32 v92, v65, v72
	v_dual_sub_f32 v65, v64, v83 :: v_dual_fma_f32 v77, v66, v66, -v73
	v_mul_f32_e32 v80, v64, v64
	v_frexp_exp_i32_f64_e32 v88, v[74:75]
	s_delay_alu instid0(VALU_DEP_3) | instskip(SKIP_1) | instid1(VALU_DEP_2)
	v_dual_add_f32 v72, v92, v92 :: v_dual_sub_f32 v93, v67, v65
	v_frexp_exp_i32_f64_e32 v89, v[78:79]
	v_dual_fmac_f32 v77, v66, v72 :: v_dual_add_f32 v67, v93, v93
	s_delay_alu instid0(VALU_DEP_1) | instskip(NEXT) | instid1(VALU_DEP_1)
	v_dual_fma_f32 v65, v64, v64, -v80 :: v_dual_add_f32 v72, v73, v77
	v_sub_f32_e32 v73, v72, v73
	s_delay_alu instid0(VALU_DEP_1) | instskip(NEXT) | instid1(VALU_DEP_1)
	v_dual_fmac_f32 v65, v64, v67 :: v_dual_sub_f32 v86, v77, v73
	v_dual_fmaak_f32 v67, s13, v72, 0x3e91f4c4 :: v_dual_add_f32 v76, v80, v65
	s_delay_alu instid0(VALU_DEP_1) | instskip(NEXT) | instid1(VALU_DEP_1)
	v_fmaak_f32 v81, s13, v76, 0x3e91f4c4
	v_fmaak_f32 v81, v76, v81, 0x3ecccdef
	s_delay_alu instid0(VALU_DEP_1) | instskip(NEXT) | instid1(VALU_DEP_4)
	v_dual_sub_f32 v77, v76, v80 :: v_dual_mul_f32 v80, v76, v81
	v_fmaak_f32 v67, v72, v67, 0x3ecccdef
	s_delay_alu instid0(VALU_DEP_2) | instskip(NEXT) | instid1(VALU_DEP_3)
	v_sub_f32_e32 v87, v65, v77
	v_fma_f32 v65, v76, v81, -v80
	s_delay_alu instid0(VALU_DEP_1) | instskip(NEXT) | instid1(VALU_DEP_1)
	v_dual_mul_f32 v82, v72, v67 :: v_dual_fmac_f32 v65, v87, v81
	v_fma_f32 v73, v72, v67, -v82
	s_delay_alu instid0(VALU_DEP_1) | instskip(NEXT) | instid1(VALU_DEP_1)
	v_fmac_f32_e32 v73, v86, v67
	v_add_f32_e32 v77, v82, v73
	s_delay_alu instid0(VALU_DEP_1) | instskip(NEXT) | instid1(VALU_DEP_1)
	v_sub_f32_e32 v67, v77, v82
	v_sub_f32_e32 v67, v73, v67
	v_add_f32_e32 v81, 0x3f2aaaaa, v77
	s_delay_alu instid0(VALU_DEP_2) | instskip(NEXT) | instid1(VALU_DEP_1)
	v_dual_add_f32 v82, v80, v65 :: v_dual_add_f32 v67, 0x31739010, v67
	v_dual_add_f32 v73, 0xbf2aaaaa, v81 :: v_dual_sub_f32 v74, v82, v80
	v_add_f32_e32 v75, 0x3f2aaaaa, v82
	s_delay_alu instid0(VALU_DEP_1) | instskip(NEXT) | instid1(VALU_DEP_3)
	v_dual_sub_f32 v65, v65, v74 :: v_dual_add_f32 v74, 0xbf2aaaaa, v75
	v_sub_f32_e32 v73, v77, v73
	s_delay_alu instid0(VALU_DEP_2) | instskip(NEXT) | instid1(VALU_DEP_3)
	v_add_f32_e32 v65, 0x31739010, v65
	v_sub_f32_e32 v77, v82, v74
	s_delay_alu instid0(VALU_DEP_3) | instskip(SKIP_2) | instid1(VALU_DEP_4)
	v_pk_mul_f32 v[78:79], v[66:67], v[72:73]
	v_pk_add_f32 v[84:85], v[66:67], v[72:73]
	v_subrev_co_ci_u32_e64 v67, null, 0, v89, s1
	v_pk_mul_f32 v[82:83], v[64:65], v[76:77]
	s_delay_alu instid0(VALU_DEP_3) | instskip(NEXT) | instid1(VALU_DEP_3)
	v_dual_fma_f32 v80, v72, v66, -v78 :: v_dual_mov_b32 v79, v85
	v_cvt_f32_i32_e32 v67, v67
	s_delay_alu instid0(VALU_DEP_3) | instskip(NEXT) | instid1(VALU_DEP_3)
	v_fma_f32 v74, v76, v64, -v82
	v_fmac_f32_e32 v80, v72, v92
	v_pk_add_f32 v[72:73], v[64:65], v[76:77]
	v_subrev_co_ci_u32_e64 v65, null, 0, v88, s0
	s_delay_alu instid0(VALU_DEP_3) | instskip(SKIP_1) | instid1(VALU_DEP_3)
	v_dual_fmac_f32 v74, v76, v93 :: v_dual_fmac_f32 v80, v86, v66
	v_cmp_eq_f32_e64 s0, 1.0, v68
	v_cvt_f32_i32_e32 v65, v65
	s_delay_alu instid0(VALU_DEP_3) | instskip(NEXT) | instid1(VALU_DEP_4)
	v_dual_mov_b32 v83, v73 :: v_dual_fmac_f32 v74, v87, v64
	v_pk_add_f32 v[76:77], v[78:79], v[80:81]
	s_delay_alu instid0(VALU_DEP_3) | instskip(NEXT) | instid1(VALU_DEP_3)
	v_mul_f32_e32 v84, 0x3f317218, v65
	v_pk_add_f32 v[86:87], v[82:83], v[74:75]
	s_delay_alu instid0(VALU_DEP_3) | instskip(NEXT) | instid1(VALU_DEP_2)
	v_mov_b32_e32 v72, v77
	v_dual_sub_f32 v79, v81, v77 :: v_dual_mov_b32 v88, v87
	s_delay_alu instid0(VALU_DEP_2) | instskip(NEXT) | instid1(VALU_DEP_2)
	v_pk_mul_f32 v[90:91], v[76:77], v[72:73]
	v_dual_sub_f32 v81, v76, v78 :: v_dual_add_f32 v83, v85, v79
	v_sub_f32_e32 v75, v75, v87
	s_delay_alu instid0(VALU_DEP_4) | instskip(NEXT) | instid1(VALU_DEP_4)
	v_pk_mul_f32 v[78:79], v[86:87], v[88:89]
	v_fma_f32 v72, v76, v77, -v90
	s_delay_alu instid0(VALU_DEP_4) | instskip(NEXT) | instid1(VALU_DEP_4)
	v_dual_sub_f32 v79, v80, v81 :: v_dual_sub_f32 v81, v86, v82
	v_add_f32_e32 v73, v73, v75
	s_delay_alu instid0(VALU_DEP_3) | instskip(SKIP_1) | instid1(VALU_DEP_4)
	v_fmac_f32_e32 v72, v76, v83
	v_fma_f32 v80, v86, v87, -v78
	v_sub_f32_e32 v75, v74, v81
	v_fma_f32 v76, 0x3f317218, v65, -v84
	s_delay_alu instid0(VALU_DEP_4) | instskip(SKIP_3) | instid1(VALU_DEP_4)
	v_fmac_f32_e32 v72, v79, v77
	v_mul_f32_e32 v82, 0x3f317218, v67
	v_ldexp_f32 v77, v66, 1
	v_fmac_f32_e32 v80, v86, v73
	v_dual_fmac_f32 v76, 0xb102e308, v65 :: v_dual_add_f32 v85, v90, v72
	s_delay_alu instid0(VALU_DEP_4) | instskip(NEXT) | instid1(VALU_DEP_3)
	v_fma_f32 v74, 0x3f317218, v67, -v82
	v_dual_mov_b32 v91, v77 :: v_dual_fmac_f32 v80, v75, v87
	v_ldexp_f32 v75, v64, 1
	s_delay_alu instid0(VALU_DEP_4) | instskip(NEXT) | instid1(VALU_DEP_4)
	v_mov_b32_e32 v66, v85
	v_dual_fmac_f32 v74, 0xb102e308, v67 :: v_dual_mov_b32 v73, v85
	s_delay_alu instid0(VALU_DEP_4) | instskip(SKIP_3) | instid1(VALU_DEP_4)
	v_add_f32_e32 v83, v78, v80
	v_pk_add_f32 v[64:65], v[84:85], v[76:77]
	v_mov_b32_e32 v79, v75
	v_ldexp_f32 v77, v93, 1
	v_pk_add_f32 v[86:87], v[82:83], v[74:75]
	s_delay_alu instid0(VALU_DEP_4) | instskip(SKIP_2) | instid1(VALU_DEP_4)
	v_dual_mov_b32 v67, v65 :: v_dual_mov_b32 v88, v83
	v_mov_b32_e32 v81, v83
	v_ldexp_f32 v75, v92, 1
	v_mov_b32_e32 v89, v87
	s_delay_alu instid0(VALU_DEP_4) | instskip(SKIP_1) | instid1(VALU_DEP_3)
	v_pk_add_f32 v[66:67], v[66:67], v[90:91] neg_lo:[0,1] neg_hi:[0,1]
	v_dual_mov_b32 v93, v64 :: v_dual_mov_b32 v94, v87
	v_pk_add_f32 v[78:79], v[88:89], v[78:79] neg_lo:[0,1] neg_hi:[0,1]
	s_delay_alu instid0(VALU_DEP_3) | instskip(NEXT) | instid1(VALU_DEP_2)
	v_pk_add_f32 v[66:67], v[72:73], v[66:67] neg_lo:[0,1] neg_hi:[0,1]
	v_pk_add_f32 v[72:73], v[80:81], v[78:79] neg_lo:[0,1] neg_hi:[0,1]
	s_delay_alu instid0(VALU_DEP_1) | instskip(NEXT) | instid1(VALU_DEP_1)
	v_dual_add_f32 v66, v75, v66 :: v_dual_add_f32 v72, v77, v72
	v_dual_add_f32 v85, v66, v67 :: v_dual_add_f32 v83, v72, v73
	s_delay_alu instid0(VALU_DEP_1) | instskip(SKIP_2) | instid1(VALU_DEP_4)
	v_pk_add_f32 v[66:67], v[64:65], v[84:85]
	v_pk_add_f32 v[72:73], v[64:65], v[84:85] neg_lo:[0,1] neg_hi:[0,1]
	v_dual_mov_b32 v77, v64 :: v_dual_mov_b32 v92, v85
	v_pk_add_f32 v[78:79], v[86:87], v[82:83]
	v_pk_add_f32 v[80:81], v[86:87], v[82:83] neg_lo:[0,1] neg_hi:[0,1]
	v_dual_mov_b32 v73, v67 :: v_dual_mov_b32 v75, v86
	s_delay_alu instid0(VALU_DEP_3) | instskip(NEXT) | instid1(VALU_DEP_2)
	v_dual_mov_b32 v96, v83 :: v_dual_mov_b32 v81, v79
	v_pk_add_f32 v[88:89], v[76:77], v[72:73]
	v_mov_b32_e32 v84, v65
	v_pk_add_f32 v[72:73], v[76:77], v[72:73] neg_lo:[0,1] neg_hi:[0,1]
	s_delay_alu instid0(VALU_DEP_4) | instskip(NEXT) | instid1(VALU_DEP_4)
	v_pk_add_f32 v[90:91], v[74:75], v[80:81]
	v_dual_mov_b32 v97, v86 :: v_dual_mov_b32 v82, v89
	v_mov_b32_e32 v88, v67
	v_pk_add_f32 v[74:75], v[74:75], v[80:81] neg_lo:[0,1] neg_hi:[0,1]
	s_delay_alu instid0(VALU_DEP_4) | instskip(NEXT) | instid1(VALU_DEP_4)
	v_mov_b32_e32 v90, v91
	v_pk_add_f32 v[64:65], v[82:83], v[64:65] neg_lo:[0,1] neg_hi:[0,1]
	s_delay_alu instid0(VALU_DEP_2) | instskip(NEXT) | instid1(VALU_DEP_2)
	v_pk_add_f32 v[76:77], v[90:91], v[86:87] neg_lo:[0,1] neg_hi:[0,1]
	v_dual_mov_b32 v90, v79 :: v_dual_mov_b32 v65, v64
	s_delay_alu instid0(VALU_DEP_2) | instskip(SKIP_1) | instid1(VALU_DEP_3)
	v_dual_mov_b32 v85, v64 :: v_dual_mov_b32 v95, v76
	v_mov_b32_e32 v73, v76
	v_pk_add_f32 v[64:65], v[66:67], v[64:65] neg_lo:[0,1] neg_hi:[0,1]
	s_delay_alu instid0(VALU_DEP_3)
	v_pk_add_f32 v[66:67], v[88:89], v[84:85] neg_lo:[0,1] neg_hi:[0,1]
	v_mov_b32_e32 v64, v72
	v_pk_add_f32 v[76:77], v[90:91], v[94:95] neg_lo:[0,1] neg_hi:[0,1]
	v_pk_add_f32 v[78:79], v[78:79], v[72:73] neg_lo:[0,1] neg_hi:[0,1]
	v_mov_b32_e32 v78, v74
	v_pk_add_f32 v[66:67], v[92:93], v[66:67] neg_lo:[0,1] neg_hi:[0,1]
	v_dual_mov_b32 v90, v89 :: v_dual_mov_b32 v73, v89
	v_pk_add_f32 v[76:77], v[96:97], v[76:77] neg_lo:[0,1] neg_hi:[0,1]
	s_delay_alu instid0(VALU_DEP_3) | instskip(NEXT) | instid1(VALU_DEP_2)
	v_pk_add_f32 v[64:65], v[64:65], v[66:67]
	v_pk_add_f32 v[78:79], v[78:79], v[76:77]
	s_delay_alu instid0(VALU_DEP_2) | instskip(NEXT) | instid1(VALU_DEP_2)
	v_dual_mov_b32 v80, v64 :: v_dual_mov_b32 v82, v65
	v_dual_mov_b32 v81, v78 :: v_dual_mov_b32 v83, v79
	s_delay_alu instid0(VALU_DEP_1) | instskip(NEXT) | instid1(VALU_DEP_1)
	v_pk_add_f32 v[82:83], v[80:81], v[82:83]
	v_pk_add_f32 v[84:85], v[90:91], v[82:83]
	v_dual_mov_b32 v75, v91 :: v_dual_mov_b32 v77, v83
	s_delay_alu instid0(VALU_DEP_2) | instskip(NEXT) | instid1(VALU_DEP_1)
	v_dual_mov_b32 v79, v85 :: v_dual_mov_b32 v65, v84
	v_pk_add_f32 v[78:79], v[78:79], v[74:75] neg_lo:[0,1] neg_hi:[0,1]
	s_delay_alu instid0(VALU_DEP_2) | instskip(SKIP_1) | instid1(VALU_DEP_2)
	v_pk_add_f32 v[64:65], v[64:65], v[72:73] neg_lo:[0,1] neg_hi:[0,1]
	v_dual_mov_b32 v67, v82 :: v_dual_mov_b32 v73, v74
	v_dual_mov_b32 v83, v78 :: v_dual_mov_b32 v82, v64
	s_delay_alu instid0(VALU_DEP_2) | instskip(SKIP_1) | instid1(VALU_DEP_3)
	v_pk_add_f32 v[64:65], v[66:67], v[64:65] neg_lo:[0,1] neg_hi:[0,1]
	v_pk_add_f32 v[66:67], v[76:77], v[78:79] neg_lo:[0,1] neg_hi:[0,1]
	;; [unrolled: 1-line block ×3, first 2 shown]
	s_delay_alu instid0(VALU_DEP_2) | instskip(NEXT) | instid1(VALU_DEP_4)
	v_dual_mov_b32 v76, v64 :: v_dual_mov_b32 v77, v66
	v_mov_b32_e32 v66, v65
	s_delay_alu instid0(VALU_DEP_3) | instskip(NEXT) | instid1(VALU_DEP_1)
	v_pk_add_f32 v[72:73], v[72:73], v[74:75] neg_lo:[0,1] neg_hi:[0,1]
	v_pk_add_f32 v[64:65], v[76:77], v[72:73]
	s_delay_alu instid0(VALU_DEP_1) | instskip(SKIP_2) | instid1(VALU_DEP_3)
	v_pk_add_f32 v[64:65], v[64:65], v[66:67]
	v_cndmask_b32_e64 v66, 2.0, 1.0, s0
	v_cmp_eq_f32_e64 s0, 1.0, v69
	v_pk_add_f32 v[72:73], v[84:85], v[64:65]
	s_delay_alu instid0(VALU_DEP_2) | instskip(NEXT) | instid1(VALU_DEP_2)
	v_cndmask_b32_e64 v67, 2.0, 1.0, s0
	v_pk_add_f32 v[74:75], v[72:73], v[84:85] neg_lo:[0,1] neg_hi:[0,1]
	s_delay_alu instid0(VALU_DEP_2) | instskip(SKIP_1) | instid1(VALU_DEP_3)
	v_pk_mul_f32 v[76:77], v[66:67], v[72:73]
	v_trunc_f32_e32 v86, v67
	v_pk_add_f32 v[64:65], v[64:65], v[74:75] neg_lo:[0,1] neg_hi:[0,1]
	v_trunc_f32_e32 v74, v66
	s_delay_alu instid0(VALU_DEP_4) | instskip(SKIP_2) | instid1(VALU_DEP_3)
	v_dual_fma_f32 v73, v67, v73, -v77 :: v_dual_fma_f32 v78, v66, v72, -v76
	v_cmp_class_f32_e64 s0, v77, 0x204
	v_cmp_eq_f32_e64 s1, v86, v67
	v_dual_fmac_f32 v73, v67, v65 :: v_dual_fmac_f32 v78, v66, v64
	s_delay_alu instid0(VALU_DEP_1) | instskip(NEXT) | instid1(VALU_DEP_1)
	v_dual_add_f32 v64, v77, v73 :: v_dual_add_f32 v79, v76, v78
	v_cndmask_b32_e64 v80, v64, v77, s0
	v_cmp_class_f32_e64 s0, v76, 0x204
	s_delay_alu instid0(VALU_DEP_1) | instskip(NEXT) | instid1(VALU_DEP_3)
	v_cndmask_b32_e64 v81, v79, v76, s0
	v_cmp_eq_f32_e64 s0, 0x42b17218, v80
	s_delay_alu instid0(VALU_DEP_2) | instskip(NEXT) | instid1(VALU_DEP_2)
	v_cmp_class_f32_e64 s2, v81, 0x204
	v_cndmask_b32_e64 v65, 0, 0x37000000, s0
	v_cmp_eq_f32_e64 s0, 0x42b17218, v81
	s_delay_alu instid0(VALU_DEP_1) | instskip(SKIP_2) | instid1(VALU_DEP_3)
	v_cndmask_b32_e64 v72, 0, 0x37000000, s0
	v_cmp_eq_f32_e64 s0, v74, v66
	v_pk_mul_f32 v[74:75], v[66:67], 0.5 op_sel_hi:[1,0]
	v_dual_sub_f32 v83, v81, v72 :: v_dual_sub_f32 v82, v80, v65
	v_dual_sub_f32 v67, v79, v76 :: v_dual_sub_f32 v64, v64, v77
	s_delay_alu instid0(VALU_DEP_3) | instskip(NEXT) | instid1(VALU_DEP_3)
	v_trunc_f32_e32 v79, v74
	v_dual_mul_f32 v85, 0x3fb8aa3b, v83 :: v_dual_mul_f32 v84, 0x3fb8aa3b, v82
	s_delay_alu instid0(VALU_DEP_3) | instskip(NEXT) | instid1(VALU_DEP_3)
	v_sub_f32_e32 v67, v78, v67
	v_cmp_neq_f32_e64 s3, v79, v74
	s_delay_alu instid0(VALU_DEP_3) | instskip(NEXT) | instid1(VALU_DEP_4)
	v_fma_f32 v89, 0x3fb8aa3b, v83, -v85
	v_fma_f32 v87, 0x3fb8aa3b, v82, -v84
	v_rndne_f32_e32 v88, v84
	v_rndne_f32_e32 v90, v85
	s_and_b32 s3, s0, s3
	v_fmac_f32_e32 v89, 0x32a5705f, v83
	s_delay_alu instid0(VALU_DEP_3) | instskip(NEXT) | instid1(VALU_DEP_3)
	v_dual_fmac_f32 v87, 0x32a5705f, v82 :: v_dual_sub_f32 v66, v84, v88
	v_sub_f32_e32 v84, v85, v90
	v_cvt_i32_f32_e32 v77, v88
	v_cvt_i32_f32_e32 v78, v90
	v_trunc_f32_e32 v85, v75
	s_delay_alu instid0(VALU_DEP_4) | instskip(NEXT) | instid1(VALU_DEP_1)
	v_dual_add_f32 v66, v66, v87 :: v_dual_add_f32 v76, v84, v89
	v_exp_f32_e32 v66, v66
	s_delay_alu instid0(VALU_DEP_1) | instskip(NEXT) | instid1(TRANS32_DEP_2)
	v_exp_f32_e32 v76, v76
	v_ldexp_f32 v66, v66, v77
	v_sub_f32_e32 v73, v73, v64
	v_cndmask_b32_e64 v64, v67, 0, s2
	v_cmp_class_f32_e64 s2, v80, 0x204
	s_delay_alu instid0(TRANS32_DEP_1) | instskip(NEXT) | instid1(VALU_DEP_2)
	v_ldexp_f32 v67, v76, v78
	v_cndmask_b32_e64 v73, v73, 0, s2
	v_cmp_ngt_f32_e64 s2, 0xc2ce8ed0, v82
	s_delay_alu instid0(VALU_DEP_2) | instskip(NEXT) | instid1(VALU_DEP_2)
	v_pk_add_f32 v[64:65], v[64:65], v[72:73]
	v_cndmask_b32_e64 v66, 0, v66, s2
	v_cmp_ngt_f32_e64 s2, 0xc2ce8ed0, v83
	v_cndmask_b32_e64 v72, 0x7f800000, 0, s4
	s_delay_alu instid0(VALU_DEP_2) | instskip(SKIP_1) | instid1(VALU_DEP_1)
	v_cndmask_b32_e64 v76, 0, v67, s2
	v_cmp_nlt_f32_e64 s2, 0x42b17218, v82
	v_cndmask_b32_e64 v67, 0x7f800000, v66, s2
	v_cmp_nlt_f32_e64 s2, 0x42b17218, v83
	s_delay_alu instid0(VALU_DEP_2) | instskip(NEXT) | instid1(VALU_DEP_2)
	v_cmp_class_f32_e64 s5, v67, 0x204
	v_cndmask_b32_e64 v66, 0x7f800000, v76, s2
	v_cmp_neq_f32_e64 s2, v85, v75
	s_delay_alu instid0(VALU_DEP_2)
	v_pk_fma_f32 v[64:65], v[66:67], v[64:65], v[66:67]
	v_cndmask_b32_e64 v74, 1.0, v68, s3
	s_and_b32 s2, s1, s2
	s_delay_alu instid0(VALU_DEP_2) | instid1(SALU_CYCLE_1)
	v_dual_cndmask_b32 v73, 1.0, v69, s2 :: v_dual_cndmask_b32 v65, v65, v67, s5
	v_cmp_class_f32_e64 s5, v66, 0x204
	v_cndmask_b32_e64 v67, 0, v69, s2
	v_cmp_class_f32_e64 s2, v69, 0x204
	s_delay_alu instid0(VALU_DEP_4) | instskip(NEXT) | instid1(VALU_DEP_4)
	v_bfi_b32 v65, 0x7fffffff, v65, v73
	v_cndmask_b32_e64 v64, v64, v66, s5
	v_cmp_eq_f32_e64 s5, 0, v69
	s_delay_alu instid0(VALU_DEP_2) | instskip(NEXT) | instid1(VALU_DEP_2)
	v_bfi_b32 v64, 0x7fffffff, v64, v74
	v_cndmask_b32_e64 v66, 0x7f800000, 0, s5
	v_cndmask_b32_e64 v74, 0x7fc00000, v65, s1
	s_delay_alu instid0(VALU_DEP_2) | instskip(NEXT) | instid1(VALU_DEP_4)
	v_bfi_b32 v66, 0x7fffffff, v66, v67
	v_cndmask_b32_e64 v67, 0x7fc00000, v64, s0
	v_cmp_gt_f32_e64 s0, 0, v69
	v_cndmask_b32_e64 v73, 0, v68, s3
	s_mov_b32 s3, 0
	v_cndmask_b32_e64 v65, v65, v74, s0
	v_cmp_gt_f32_e64 s0, 0, v68
	s_delay_alu instid0(VALU_DEP_3) | instskip(NEXT) | instid1(VALU_DEP_2)
	v_bfi_b32 v72, 0x7fffffff, v72, v73
	v_cndmask_b32_e64 v64, v64, v67, s0
	s_or_b32 s0, s5, s2
	s_delay_alu instid0(SALU_CYCLE_1) | instskip(SKIP_4) | instid1(VALU_DEP_1)
	v_cndmask_b32_e64 v65, v65, v66, s0
	s_or_b32 s0, s8, s4
	s_mov_b64 s[8:9], 0xfe5163ab
	v_cndmask_b32_e64 v64, v64, v72, s0
	v_cmp_o_f32_e64 s0, v69, v69
	v_cndmask_b32_e64 v65, 0x7fc00000, v65, s0
	v_cmp_o_f32_e64 s0, v68, v68
	s_delay_alu instid0(VALU_DEP_1) | instskip(NEXT) | instid1(VALU_DEP_1)
	v_cndmask_b32_e64 v64, 0x7fc00000, v64, s0
	v_dual_add_f32 v72, v64, v65 :: v_dual_mov_b32 v65, 0
.LBB1_16:                               ; =>This Inner Loop Header: Depth=1
	s_add_co_i32 s15, s3, 1
                                        ; implicit-def: $vgpr68
	s_mov_b32 s1, exec_lo
	s_mov_b32 m0, s15
	s_wait_loadcnt 0x0
	v_movrels_b32_e32 v64, v30
	s_delay_alu instid0(VALU_DEP_1) | instskip(NEXT) | instid1(VALU_DEP_1)
	v_add_f32_e32 v64, -1.0, v64
	v_fma_f32 v64, 0x3e800000, v64, 1.0
	s_delay_alu instid0(VALU_DEP_1) | instskip(NEXT) | instid1(VALU_DEP_1)
	v_mul_f32_e32 v66, 0x40490e56, v64
                                        ; implicit-def: $vgpr64
	v_and_b32_e32 v67, 0x7fffffff, v66
	v_cmpx_ngt_f32_e64 0x48000000, |v66|
	s_xor_b32 s4, exec_lo, s1
	s_cbranch_execz .LBB1_18
; %bb.17:                               ;   in Loop: Header=BB1_16 Depth=1
	s_delay_alu instid0(VALU_DEP_2) | instskip(SKIP_1) | instid1(VALU_DEP_2)
	v_and_or_b32 v64, v67, s14, 0x800000
	v_mov_b32_e32 v83, v65
	v_mul_u64_e32 v[68:69], s[8:9], v[64:65]
	s_delay_alu instid0(VALU_DEP_1) | instskip(SKIP_1) | instid1(VALU_DEP_2)
	v_dual_mov_b32 v75, v65 :: v_dual_mov_b32 v74, v69
	v_lshrrev_b32_e32 v69, 23, v67
	v_mad_nc_u64_u32 v[74:75], 0x3c439041, v64, v[74:75]
	v_mov_b32_e32 v77, v65
	s_delay_alu instid0(VALU_DEP_3) | instskip(NEXT) | instid1(VALU_DEP_1)
	v_add_nc_u32_e32 v69, 0xffffff88, v69
	v_cmp_lt_u32_e64 s0, 63, v69
	s_delay_alu instid0(VALU_DEP_4) | instskip(NEXT) | instid1(VALU_DEP_2)
	v_mov_b32_e32 v76, v75
	v_cndmask_b32_e64 v73, 0, 0xffffffc0, s0
	s_delay_alu instid0(VALU_DEP_2) | instskip(NEXT) | instid1(VALU_DEP_1)
	v_mad_nc_u64_u32 v[76:77], 0xdb629599, v64, v[76:77]
	v_dual_mov_b32 v79, v65 :: v_dual_mov_b32 v78, v77
	s_delay_alu instid0(VALU_DEP_2) | instskip(NEXT) | instid1(VALU_DEP_2)
	v_cndmask_b32_e64 v68, v76, v68, s0
	v_mad_nc_u64_u32 v[78:79], 0xf534ddc0, v64, v[78:79]
	s_delay_alu instid0(VALU_DEP_1) | instskip(NEXT) | instid1(VALU_DEP_1)
	v_dual_mov_b32 v81, v65 :: v_dual_mov_b32 v80, v79
	v_mad_nc_u64_u32 v[80:81], 0xfc2757d1, v64, v[80:81]
	s_delay_alu instid0(VALU_DEP_1) | instskip(NEXT) | instid1(VALU_DEP_1)
	v_dual_mov_b32 v82, v81 :: v_dual_cndmask_b32 v79, v80, v76, s0
	v_mad_nc_u64_u32 v[82:83], 0x4e441529, v64, v[82:83]
	v_add_nc_u32_e32 v69, v73, v69
	s_delay_alu instid0(VALU_DEP_2) | instskip(NEXT) | instid1(VALU_DEP_2)
	v_dual_mov_b32 v85, v65 :: v_dual_mov_b32 v84, v83
	v_cmp_lt_u32_e64 s1, 31, v69
	s_delay_alu instid0(VALU_DEP_2) | instskip(NEXT) | instid1(VALU_DEP_2)
	v_mad_nc_u64_u32 v[84:85], 0xa2f9836e, v64, v[84:85]
	v_cndmask_b32_e64 v73, 0, 0xffffffe0, s1
	s_delay_alu instid0(VALU_DEP_1) | instskip(NEXT) | instid1(VALU_DEP_3)
	v_dual_add_nc_u32 v64, v73, v69 :: v_dual_cndmask_b32 v73, v82, v78, s0
	v_cndmask_b32_e64 v75, v84, v80, s0
	s_delay_alu instid0(VALU_DEP_2) | instskip(SKIP_1) | instid1(VALU_DEP_2)
	v_cmp_lt_u32_e64 s2, 31, v64
	v_cndmask_b32_e64 v77, v85, v82, s0
	v_cndmask_b32_e64 v69, 0, 0xffffffe0, s2
	s_delay_alu instid0(VALU_DEP_1) | instskip(NEXT) | instid1(VALU_DEP_3)
	v_dual_add_nc_u32 v64, v69, v64 :: v_dual_cndmask_b32 v69, v78, v74, s0
	v_dual_cndmask_b32 v74, v75, v73, s1 :: v_dual_cndmask_b32 v75, v77, v75, s1
	s_delay_alu instid0(VALU_DEP_2) | instskip(NEXT) | instid1(VALU_DEP_3)
	v_dual_cndmask_b32 v73, v73, v79, s1 :: v_dual_sub_nc_u32 v77, 32, v64
	v_cndmask_b32_e64 v78, v79, v69, s1
	v_cmp_eq_u32_e64 s0, 0, v64
	s_delay_alu instid0(VALU_DEP_3) | instskip(NEXT) | instid1(VALU_DEP_1)
	v_dual_cndmask_b32 v75, v75, v74, s2 :: v_dual_cndmask_b32 v74, v74, v73, s2
	v_alignbit_b32 v79, v75, v74, v77
	s_delay_alu instid0(VALU_DEP_1) | instskip(NEXT) | instid1(VALU_DEP_1)
	v_dual_cndmask_b32 v73, v73, v78, s2 :: v_dual_cndmask_b32 v64, v79, v75, s0
	v_alignbit_b32 v76, v74, v73, v77
	s_delay_alu instid0(VALU_DEP_1) | instskip(NEXT) | instid1(VALU_DEP_3)
	v_dual_cndmask_b32 v68, v69, v68, s1 :: v_dual_cndmask_b32 v69, v76, v74, s0
	v_bfe_u32 v74, v64, 29, 1
	s_delay_alu instid0(VALU_DEP_2) | instskip(NEXT) | instid1(VALU_DEP_3)
	v_cndmask_b32_e64 v68, v78, v68, s2
	v_alignbit_b32 v75, v64, v69, 30
	s_delay_alu instid0(VALU_DEP_3) | instskip(NEXT) | instid1(VALU_DEP_3)
	v_sub_nc_u32_e32 v76, 0, v74
	v_alignbit_b32 v77, v73, v68, v77
	s_delay_alu instid0(VALU_DEP_1) | instskip(NEXT) | instid1(VALU_DEP_1)
	v_dual_cndmask_b32 v73, v77, v73, s0 :: v_dual_bitop2_b32 v75, v75, v76 bitop3:0x14
	v_clz_i32_u32_e32 v77, v75
	s_delay_alu instid0(VALU_DEP_2) | instskip(SKIP_1) | instid1(VALU_DEP_3)
	v_alignbit_b32 v69, v69, v73, 30
	v_alignbit_b32 v68, v73, v68, 30
	v_min_u32_e32 v77, 32, v77
	s_delay_alu instid0(VALU_DEP_3) | instskip(NEXT) | instid1(VALU_DEP_3)
	v_xor_b32_e32 v69, v69, v76
	v_xor_b32_e32 v68, v68, v76
	s_delay_alu instid0(VALU_DEP_3) | instskip(SKIP_1) | instid1(VALU_DEP_1)
	v_dual_lshrrev_b32 v76, 29, v64 :: v_dual_lshlrev_b32 v78, 23, v77
	v_sub_nc_u32_e32 v73, 31, v77
	v_alignbit_b32 v75, v75, v69, v73
	s_delay_alu instid0(VALU_DEP_4) | instskip(NEXT) | instid1(VALU_DEP_4)
	v_alignbit_b32 v68, v69, v68, v73
	v_lshlrev_b32_e32 v69, 31, v76
	s_delay_alu instid0(VALU_DEP_2) | instskip(NEXT) | instid1(VALU_DEP_2)
	v_alignbit_b32 v73, v75, v68, 9
	v_dual_lshrrev_b32 v75, 9, v75 :: v_dual_bitop2_b32 v76, 0.5, v69 bitop3:0x54
	v_or_b32_e32 v69, 0x33000000, v69
	s_delay_alu instid0(VALU_DEP_3) | instskip(NEXT) | instid1(VALU_DEP_3)
	v_clz_i32_u32_e32 v79, v73
	v_sub_nc_u32_e32 v76, v76, v78
	s_delay_alu instid0(VALU_DEP_2) | instskip(NEXT) | instid1(VALU_DEP_1)
	v_min_u32_e32 v78, 32, v79
	v_add_lshl_u32 v77, v78, v77, 23
	s_delay_alu instid0(VALU_DEP_3) | instskip(SKIP_1) | instid1(VALU_DEP_3)
	v_or_b32_e32 v75, v75, v76
	v_not_b32_e32 v76, v78
	v_sub_nc_u32_e32 v69, v69, v77
	s_delay_alu instid0(VALU_DEP_3) | instskip(NEXT) | instid1(VALU_DEP_3)
	v_mul_f32_e32 v79, 0x3fc90fda, v75
	v_alignbit_b32 v68, v73, v68, v76
	s_delay_alu instid0(VALU_DEP_2) | instskip(NEXT) | instid1(VALU_DEP_1)
	v_fma_f32 v73, 0x3fc90fda, v75, -v79
	v_dual_fmac_f32 v73, 0x33a22168, v75 :: v_dual_lshrrev_b32 v68, 9, v68
	s_delay_alu instid0(VALU_DEP_1) | instskip(NEXT) | instid1(VALU_DEP_1)
	v_or_b32_e32 v68, v69, v68
	v_fmac_f32_e32 v73, 0x3fc90fda, v68
	v_lshrrev_b32_e32 v68, 30, v64
	s_delay_alu instid0(VALU_DEP_1)
	v_dual_add_nc_u32 v68, v74, v68 :: v_dual_add_f32 v64, v79, v73
.LBB1_18:                               ;   in Loop: Header=BB1_16 Depth=1
	s_and_not1_saveexec_b32 s0, s4
; %bb.19:                               ;   in Loop: Header=BB1_16 Depth=1
	v_mul_f32_e64 v64, 0x3f22f983, |v66|
	s_delay_alu instid0(VALU_DEP_1) | instskip(NEXT) | instid1(VALU_DEP_1)
	v_rndne_f32_e32 v68, v64
	v_fma_f32 v64, 0xbfc90fda, v68, |v66|
	s_delay_alu instid0(VALU_DEP_1) | instskip(NEXT) | instid1(VALU_DEP_1)
	v_fmac_f32_e32 v64, 0xb3a22168, v68
	v_fmac_f32_e32 v64, 0xa7c234c4, v68
	v_cvt_i32_f32_e32 v68, v68
; %bb.20:                               ;   in Loop: Header=BB1_16 Depth=1
	s_or_b32 exec_lo, exec_lo, s0
	s_mov_b32 m0, s3
	s_delay_alu instid0(VALU_DEP_1) | instskip(SKIP_2) | instid1(VALU_DEP_2)
	v_and_b32_e32 v76, 1, v68
	v_movrels_b32_e32 v75, v30
	v_mul_f32_e32 v69, v64, v64
	v_dual_add_f32 v75, -1.0, v75 :: v_dual_lshlrev_b32 v68, 30, v68
	s_delay_alu instid0(VALU_DEP_2) | instskip(SKIP_1) | instid1(VALU_DEP_3)
	v_fmaak_f32 v73, s10, v69, 0x3c0881c4
	v_fmaak_f32 v74, s11, v69, 0xbab64f3b
	v_and_b32_e32 v68, 0x80000000, v68
	s_delay_alu instid0(VALU_DEP_3) | instskip(NEXT) | instid1(VALU_DEP_1)
	v_fmaak_f32 v73, v69, v73, 0xbe2aaa9d
	v_dual_fmaak_f32 v74, v69, v74, 0x3d2aabf7 :: v_dual_mul_f32 v73, v69, v73
	s_delay_alu instid0(VALU_DEP_1) | instskip(NEXT) | instid1(VALU_DEP_2)
	v_fmaak_f32 v74, v69, v74, 0xbf000004
	v_fmac_f32_e32 v64, v64, v73
	s_delay_alu instid0(VALU_DEP_2) | instskip(SKIP_2) | instid1(VALU_DEP_1)
	v_fma_f32 v69, v69, v74, 1.0
	v_fma_f32 v73, 0x3e800000, v75, 1.0
	v_cmp_eq_u32_e64 s0, 0, v76
	v_dual_cndmask_b32 v69, v69, v64, s0 :: v_dual_bitop2_b32 v67, v67, v66 bitop3:0x14
	s_delay_alu instid0(VALU_DEP_3) | instskip(SKIP_1) | instid1(VALU_DEP_3)
	v_add_f32_e32 v64, -1.0, v73
	v_cmp_class_f32_e64 s0, v66, 0x1f8
	v_xor3_b32 v67, v67, v68, v69
	s_delay_alu instid0(VALU_DEP_3) | instskip(NEXT) | instid1(VALU_DEP_2)
	v_frexp_mant_f32_e64 v68, |v64|
	v_cndmask_b32_e64 v73, 0x7fc00000, v67, s0
	s_delay_alu instid0(VALU_DEP_2) | instskip(NEXT) | instid1(VALU_DEP_2)
	v_cmp_gt_f32_e64 s0, 0x3f2aaaab, v68
	v_frexp_mant_f32_e64 v67, |v73|
	s_delay_alu instid0(VALU_DEP_2) | instskip(SKIP_1) | instid1(VALU_DEP_3)
	v_cndmask_b32_e64 v66, 1.0, 2.0, s0
	v_cmp_eq_f32_e64 s5, 0, v73
	v_cmp_gt_f32_e64 s1, 0x3f2aaaab, v67
	s_delay_alu instid0(VALU_DEP_3) | instskip(NEXT) | instid1(VALU_DEP_2)
	v_mul_f32_e32 v66, v68, v66
	v_cndmask_b32_e64 v68, 1.0, 2.0, s1
	s_delay_alu instid0(VALU_DEP_1) | instskip(NEXT) | instid1(VALU_DEP_1)
	v_dual_add_f32 v75, 1.0, v66 :: v_dual_mul_f32 v68, v67, v68
	v_rcp_f32_e32 v82, v75
	v_dual_add_f32 v67, -1.0, v66 :: v_dual_add_f32 v76, -1.0, v75
	s_delay_alu instid0(VALU_DEP_2)
	v_dual_add_f32 v77, 1.0, v68 :: v_dual_add_f32 v69, -1.0, v68
	s_delay_alu instid0(TRANS32_DEP_1) | instid1(VALU_DEP_2)
	v_mul_f32_e32 v83, v67, v82
	s_delay_alu instid0(VALU_DEP_2) | instskip(SKIP_1) | instid1(TRANS32_DEP_1)
	v_rcp_f32_e32 v84, v77
	v_nop
	v_dual_mul_f32 v74, v75, v83 :: v_dual_mul_f32 v85, v69, v84
	s_delay_alu instid0(VALU_DEP_1) | instskip(NEXT) | instid1(VALU_DEP_1)
	v_dual_sub_f32 v66, v66, v76 :: v_dual_fma_f32 v76, v83, v75, -v74
	v_dual_add_f32 v75, -1.0, v77 :: v_dual_fmac_f32 v76, v83, v66
	s_delay_alu instid0(VALU_DEP_1) | instskip(NEXT) | instid1(VALU_DEP_1)
	v_dual_mul_f32 v78, v77, v85 :: v_dual_sub_f32 v68, v68, v75
	v_dual_add_f32 v66, v74, v76 :: v_dual_fma_f32 v80, v85, v77, -v78
	s_delay_alu instid0(VALU_DEP_1) | instskip(NEXT) | instid1(VALU_DEP_1)
	v_dual_sub_f32 v75, v67, v66 :: v_dual_fmac_f32 v80, v85, v68
	v_add_f32_e32 v68, v78, v80
	v_mov_b32_e32 v77, v66
	s_delay_alu instid0(VALU_DEP_3) | instskip(NEXT) | instid1(VALU_DEP_3)
	v_pk_add_f32 v[66:67], v[66:67], v[74:75] neg_lo:[0,1] neg_hi:[0,1]
	v_sub_f32_e32 v79, v69, v68
	s_delay_alu instid0(VALU_DEP_2) | instskip(SKIP_1) | instid1(VALU_DEP_3)
	v_pk_add_f32 v[66:67], v[66:67], v[76:77] neg_lo:[0,1] neg_hi:[0,1]
	v_mov_b32_e32 v81, v68
	v_pk_add_f32 v[68:69], v[68:69], v[78:79] neg_lo:[0,1] neg_hi:[0,1]
	s_delay_alu instid0(VALU_DEP_3) | instskip(NEXT) | instid1(VALU_DEP_2)
	v_add_f32_e32 v74, v66, v67
	v_pk_add_f32 v[66:67], v[68:69], v[80:81] neg_lo:[0,1] neg_hi:[0,1]
	v_cvt_f64_f32_e64 v[80:81], |v73|
	s_delay_alu instid0(VALU_DEP_2) | instskip(NEXT) | instid1(VALU_DEP_1)
	v_dual_add_f32 v68, v75, v74 :: v_dual_add_f32 v66, v66, v67
	v_dual_add_f32 v66, v79, v66 :: v_dual_mul_f32 v67, v82, v68
	s_delay_alu instid0(VALU_DEP_1) | instskip(NEXT) | instid1(VALU_DEP_1)
	v_dual_mul_f32 v69, v84, v66 :: v_dual_add_f32 v68, v83, v67
	v_dual_add_f32 v66, v85, v69 :: v_dual_sub_f32 v74, v68, v83
	v_mul_f32_e32 v77, v68, v68
	v_ldexp_f32 v91, v68, 1
	s_delay_alu instid0(VALU_DEP_3) | instskip(NEXT) | instid1(VALU_DEP_3)
	v_dual_sub_f32 v93, v67, v74 :: v_dual_sub_f32 v67, v66, v85
	v_dual_fma_f32 v79, v68, v68, -v77 :: v_dual_mul_f32 v82, v66, v66
	v_cvt_f64_f32_e64 v[74:75], |v64|
	s_delay_alu instid0(VALU_DEP_3) | instskip(NEXT) | instid1(VALU_DEP_4)
	v_add_f32_e32 v76, v93, v93
	v_sub_f32_e32 v96, v69, v67
	v_frexp_exp_i32_f64_e32 v90, v[80:81]
	s_delay_alu instid0(VALU_DEP_3) | instskip(NEXT) | instid1(VALU_DEP_1)
	v_dual_fma_f32 v67, v66, v66, -v82 :: v_dual_fmac_f32 v79, v68, v76
	v_dual_add_f32 v69, v96, v96 :: v_dual_add_f32 v76, v77, v79
	s_delay_alu instid0(VALU_DEP_1) | instskip(NEXT) | instid1(VALU_DEP_2)
	v_fmac_f32_e32 v67, v66, v69
	v_fmaak_f32 v69, s13, v76, 0x3e91f4c4
	s_delay_alu instid0(VALU_DEP_1) | instskip(NEXT) | instid1(VALU_DEP_1)
	v_fmaak_f32 v69, v76, v69, 0x3ecccdef
	v_dual_mul_f32 v84, v76, v69 :: v_dual_add_f32 v78, v82, v67
	v_sub_f32_e32 v77, v76, v77
	s_delay_alu instid0(VALU_DEP_1) | instskip(SKIP_2) | instid1(VALU_DEP_3)
	v_dual_fmaak_f32 v83, s13, v78, 0x3e91f4c4 :: v_dual_sub_f32 v88, v79, v77
	v_sub_f32_e32 v79, v78, v82
	v_frexp_exp_i32_f64_e32 v86, v[74:75]
	v_fmaak_f32 v83, v78, v83, 0x3ecccdef
	s_delay_alu instid0(VALU_DEP_3) | instskip(NEXT) | instid1(VALU_DEP_2)
	v_sub_f32_e32 v89, v67, v79
	v_dual_mul_f32 v82, v78, v83 :: v_dual_fma_f32 v77, v76, v69, -v84
	s_delay_alu instid0(VALU_DEP_1) | instskip(NEXT) | instid1(VALU_DEP_1)
	v_fmac_f32_e32 v77, v88, v69
	v_dual_add_f32 v74, v84, v77 :: v_dual_fma_f32 v67, v78, v83, -v82
	s_delay_alu instid0(VALU_DEP_1) | instskip(SKIP_1) | instid1(VALU_DEP_2)
	v_dual_sub_f32 v69, v74, v84 :: v_dual_fmac_f32 v67, v89, v83
	v_add_f32_e32 v75, 0x3f2aaaaa, v74
	v_dual_sub_f32 v69, v77, v69 :: v_dual_add_f32 v79, v82, v67
	s_delay_alu instid0(VALU_DEP_1) | instskip(NEXT) | instid1(VALU_DEP_2)
	v_add_f32_e32 v69, 0x31739010, v69
	v_dual_sub_f32 v77, v79, v82 :: v_dual_add_f32 v82, 0xbf2aaaaa, v75
	v_add_f32_e32 v83, 0x3f2aaaaa, v79
	s_delay_alu instid0(VALU_DEP_1) | instskip(NEXT) | instid1(VALU_DEP_3)
	v_dual_sub_f32 v67, v67, v77 :: v_dual_add_f32 v80, 0xbf2aaaaa, v83
	v_sub_f32_e32 v77, v74, v82
	s_delay_alu instid0(VALU_DEP_2) | instskip(NEXT) | instid1(VALU_DEP_3)
	v_add_f32_e32 v67, 0x31739010, v67
	v_sub_f32_e32 v79, v79, v80
	s_delay_alu instid0(VALU_DEP_3) | instskip(SKIP_2) | instid1(VALU_DEP_4)
	v_pk_mul_f32 v[80:81], v[68:69], v[76:77]
	v_subrev_co_ci_u32_e64 v81, null, 0, v86, s0
	v_cmp_eq_f32_e64 s0, 1.0, v64
	v_pk_mul_f32 v[84:85], v[66:67], v[78:79]
	s_delay_alu instid0(VALU_DEP_4) | instskip(NEXT) | instid1(VALU_DEP_1)
	v_fma_f32 v74, v76, v68, -v80
	v_dual_fma_f32 v82, v78, v66, -v84 :: v_dual_fmac_f32 v74, v76, v93
	s_delay_alu instid0(VALU_DEP_1) | instskip(NEXT) | instid1(VALU_DEP_2)
	v_fmac_f32_e32 v82, v78, v96
	v_fmac_f32_e32 v74, v88, v68
	v_pk_add_f32 v[86:87], v[68:69], v[76:77]
	v_cvt_f32_i32_e32 v69, v81
	s_delay_alu instid0(VALU_DEP_4) | instskip(SKIP_1) | instid1(VALU_DEP_4)
	v_fmac_f32_e32 v82, v89, v66
	v_pk_add_f32 v[76:77], v[66:67], v[78:79]
	v_mov_b32_e32 v81, v87
	v_subrev_co_ci_u32_e64 v67, null, 0, v90, s1
	s_delay_alu instid0(VALU_DEP_3) | instskip(NEXT) | instid1(VALU_DEP_3)
	v_mov_b32_e32 v85, v77
	v_pk_add_f32 v[78:79], v[80:81], v[74:75]
	v_mul_f32_e32 v76, 0x3f317218, v69
	s_delay_alu instid0(VALU_DEP_4) | instskip(NEXT) | instid1(VALU_DEP_4)
	v_cvt_f32_i32_e32 v67, v67
	v_pk_add_f32 v[88:89], v[84:85], v[82:83]
	s_delay_alu instid0(VALU_DEP_4) | instskip(SKIP_2) | instid1(VALU_DEP_4)
	v_mov_b32_e32 v86, v79
	v_dual_sub_f32 v75, v75, v79 :: v_dual_sub_f32 v85, v78, v80
	v_fma_f32 v90, 0x3f317218, v69, -v76
	v_mov_b32_e32 v92, v89
	s_delay_alu instid0(VALU_DEP_4)
	v_pk_mul_f32 v[94:95], v[78:79], v[86:87]
	v_sub_f32_e32 v83, v83, v89
	v_add_f32_e32 v75, v87, v75
	v_mov_b32_e32 v95, v91
	v_pk_mul_f32 v[80:81], v[88:89], v[92:93]
	v_dual_fma_f32 v86, v78, v79, -v94 :: v_dual_sub_f32 v81, v88, v84
	v_dual_add_f32 v77, v77, v83 :: v_dual_sub_f32 v83, v74, v85
	s_delay_alu instid0(VALU_DEP_2) | instskip(NEXT) | instid1(VALU_DEP_3)
	v_dual_fma_f32 v84, v88, v89, -v80 :: v_dual_fmac_f32 v86, v78, v75
	v_dual_mul_f32 v74, 0x3f317218, v67 :: v_dual_sub_f32 v75, v82, v81
	s_delay_alu instid0(VALU_DEP_2) | instskip(NEXT) | instid1(VALU_DEP_2)
	v_fmac_f32_e32 v84, v88, v77
	v_fma_f32 v78, 0x3f317218, v67, -v74
	s_delay_alu instid0(VALU_DEP_2) | instskip(SKIP_1) | instid1(VALU_DEP_3)
	v_fmac_f32_e32 v84, v75, v89
	v_fmac_f32_e32 v86, v83, v79
	;; [unrolled: 1-line block ×3, first 2 shown]
	v_ldexp_f32 v79, v66, 1
	s_delay_alu instid0(VALU_DEP_4) | instskip(NEXT) | instid1(VALU_DEP_2)
	v_dual_add_f32 v75, v80, v84 :: v_dual_fmac_f32 v90, 0xb102e308, v69
	v_dual_add_f32 v77, v94, v86 :: v_dual_mov_b32 v81, v79
	s_delay_alu instid0(VALU_DEP_2) | instskip(SKIP_1) | instid1(VALU_DEP_3)
	v_pk_add_f32 v[68:69], v[74:75], v[78:79]
	v_mov_b32_e32 v88, v75
	v_pk_add_f32 v[66:67], v[76:77], v[90:91]
	v_dual_mov_b32 v82, v77 :: v_dual_mov_b32 v87, v77
	s_delay_alu instid0(VALU_DEP_4) | instskip(NEXT) | instid1(VALU_DEP_3)
	v_dual_mov_b32 v85, v75 :: v_dual_mov_b32 v89, v69
	v_mov_b32_e32 v83, v67
	v_ldexp_f32 v75, v93, 1
	v_ldexp_f32 v77, v96, 1
	v_mov_b32_e32 v91, v66
	v_pk_add_f32 v[80:81], v[88:89], v[80:81] neg_lo:[0,1] neg_hi:[0,1]
	v_pk_add_f32 v[82:83], v[82:83], v[94:95] neg_lo:[0,1] neg_hi:[0,1]
	v_dual_mov_b32 v95, v66 :: v_dual_mov_b32 v96, v69
	s_delay_alu instid0(VALU_DEP_3) | instskip(NEXT) | instid1(VALU_DEP_3)
	v_pk_add_f32 v[80:81], v[84:85], v[80:81] neg_lo:[0,1] neg_hi:[0,1]
	v_pk_add_f32 v[82:83], v[86:87], v[82:83] neg_lo:[0,1] neg_hi:[0,1]
	s_delay_alu instid0(VALU_DEP_1) | instskip(NEXT) | instid1(VALU_DEP_1)
	v_dual_add_f32 v79, v77, v80 :: v_dual_add_f32 v75, v75, v82
	v_add_f32_e32 v77, v75, v83
	s_delay_alu instid0(VALU_DEP_2) | instskip(NEXT) | instid1(VALU_DEP_2)
	v_add_f32_e32 v75, v79, v81
	v_pk_add_f32 v[80:81], v[66:67], v[76:77]
	v_pk_add_f32 v[84:85], v[66:67], v[76:77] neg_lo:[0,1] neg_hi:[0,1]
	s_delay_alu instid0(VALU_DEP_2) | instskip(NEXT) | instid1(VALU_DEP_4)
	v_dual_mov_b32 v94, v77 :: v_dual_mov_b32 v85, v81
	v_pk_add_f32 v[82:83], v[68:69], v[74:75]
	v_pk_add_f32 v[86:87], v[68:69], v[74:75] neg_lo:[0,1] neg_hi:[0,1]
	v_dual_mov_b32 v79, v68 :: v_dual_mov_b32 v74, v67
	s_delay_alu instid0(VALU_DEP_4) | instskip(NEXT) | instid1(VALU_DEP_4)
	v_pk_add_f32 v[88:89], v[90:91], v[84:85]
	v_dual_mov_b32 v87, v83 :: v_dual_mov_b32 v88, v81
	v_pk_add_f32 v[84:85], v[90:91], v[84:85] neg_lo:[0,1] neg_hi:[0,1]
	s_delay_alu instid0(VALU_DEP_3) | instskip(NEXT) | instid1(VALU_DEP_3)
	v_mov_b32_e32 v76, v89
	v_pk_add_f32 v[92:93], v[78:79], v[86:87]
	v_dual_mov_b32 v99, v68 :: v_dual_mov_b32 v92, v83
	v_pk_add_f32 v[78:79], v[78:79], v[86:87] neg_lo:[0,1] neg_hi:[0,1]
	s_delay_alu instid0(VALU_DEP_4) | instskip(NEXT) | instid1(VALU_DEP_4)
	v_pk_add_f32 v[66:67], v[76:77], v[66:67] neg_lo:[0,1] neg_hi:[0,1]
	v_dual_mov_b32 v100, v93 :: v_dual_mov_b32 v98, v75
	s_delay_alu instid0(VALU_DEP_2) | instskip(NEXT) | instid1(VALU_DEP_2)
	v_mov_b32_e32 v75, v66
	v_pk_add_f32 v[68:69], v[100:101], v[68:69] neg_lo:[0,1] neg_hi:[0,1]
	v_mov_b32_e32 v67, v66
	s_delay_alu instid0(VALU_DEP_3) | instskip(NEXT) | instid1(VALU_DEP_3)
	v_pk_add_f32 v[74:75], v[88:89], v[74:75] neg_lo:[0,1] neg_hi:[0,1]
	v_dual_mov_b32 v97, v68 :: v_dual_mov_b32 v69, v68
	s_delay_alu instid0(VALU_DEP_3) | instskip(SKIP_1) | instid1(VALU_DEP_4)
	v_pk_add_f32 v[66:67], v[80:81], v[66:67] neg_lo:[0,1] neg_hi:[0,1]
	v_mov_b32_e32 v66, v84
	v_pk_add_f32 v[74:75], v[94:95], v[74:75] neg_lo:[0,1] neg_hi:[0,1]
	s_delay_alu instid0(VALU_DEP_4) | instskip(SKIP_2) | instid1(VALU_DEP_4)
	v_pk_add_f32 v[80:81], v[92:93], v[96:97] neg_lo:[0,1] neg_hi:[0,1]
	v_pk_add_f32 v[68:69], v[82:83], v[68:69] neg_lo:[0,1] neg_hi:[0,1]
	v_mov_b32_e32 v68, v78
	v_pk_add_f32 v[66:67], v[66:67], v[74:75]
	s_delay_alu instid0(VALU_DEP_4) | instskip(NEXT) | instid1(VALU_DEP_1)
	v_pk_add_f32 v[80:81], v[98:99], v[80:81] neg_lo:[0,1] neg_hi:[0,1]
	v_pk_add_f32 v[68:69], v[68:69], v[80:81]
	s_delay_alu instid0(VALU_DEP_1) | instskip(NEXT) | instid1(VALU_DEP_1)
	v_dual_mov_b32 v82, v67 :: v_dual_mov_b32 v86, v69
	v_pk_add_f32 v[82:83], v[66:67], v[82:83]
	s_delay_alu instid0(VALU_DEP_2) | instskip(NEXT) | instid1(VALU_DEP_2)
	v_pk_add_f32 v[86:87], v[68:69], v[86:87]
	v_pk_add_f32 v[76:77], v[76:77], v[82:83]
	v_dual_mov_b32 v85, v89 :: v_dual_mov_b32 v75, v82
	s_delay_alu instid0(VALU_DEP_3) | instskip(NEXT) | instid1(VALU_DEP_4)
	v_mov_b32_e32 v81, v86
	v_pk_add_f32 v[90:91], v[100:101], v[86:87]
	s_delay_alu instid0(VALU_DEP_4) | instskip(NEXT) | instid1(VALU_DEP_2)
	v_dual_mov_b32 v67, v76 :: v_dual_mov_b32 v79, v93
	v_mov_b32_e32 v69, v90
	s_delay_alu instid0(VALU_DEP_2) | instskip(NEXT) | instid1(VALU_DEP_2)
	v_pk_add_f32 v[88:89], v[66:67], v[84:85] neg_lo:[0,1] neg_hi:[0,1]
	v_pk_add_f32 v[92:93], v[68:69], v[78:79] neg_lo:[0,1] neg_hi:[0,1]
	s_delay_alu instid0(VALU_DEP_2) | instskip(NEXT) | instid1(VALU_DEP_3)
	v_sub_f32_e32 v69, v66, v88
	v_pk_add_f32 v[66:67], v[74:75], v[88:89] neg_lo:[0,1] neg_hi:[0,1]
	s_delay_alu instid0(VALU_DEP_3) | instskip(NEXT) | instid1(VALU_DEP_3)
	v_sub_f32_e32 v77, v68, v92
	v_sub_f32_e32 v74, v84, v69
	v_pk_add_f32 v[68:69], v[80:81], v[92:93] neg_lo:[0,1] neg_hi:[0,1]
	s_delay_alu instid0(VALU_DEP_2) | instskip(NEXT) | instid1(VALU_DEP_1)
	v_add_f32_e32 v66, v66, v74
	v_add_f32_e32 v66, v66, v67
	v_sub_f32_e32 v75, v78, v77
	s_delay_alu instid0(VALU_DEP_1) | instskip(NEXT) | instid1(VALU_DEP_1)
	v_add_f32_e32 v68, v68, v75
	v_add_f32_e32 v67, v68, v69
	v_cndmask_b32_e64 v68, 2.0, 1.0, s0
	v_add_f32_e32 v69, v76, v66
	v_cmp_eq_f32_e64 s0, 1.0, v73
	s_delay_alu instid0(VALU_DEP_3) | instskip(NEXT) | instid1(VALU_DEP_3)
	v_trunc_f32_e32 v85, v68
	v_dual_sub_f32 v76, v69, v76 :: v_dual_add_f32 v74, v90, v67
	v_mul_f32_e32 v77, v68, v69
	s_delay_alu instid0(VALU_DEP_4) | instskip(SKIP_1) | instid1(VALU_DEP_4)
	v_cndmask_b32_e64 v75, 2.0, 1.0, s0
	v_mul_f32_e32 v82, 0.5, v68
	v_sub_f32_e32 v66, v66, v76
	s_delay_alu instid0(VALU_DEP_4) | instskip(NEXT) | instid1(VALU_DEP_4)
	v_dual_sub_f32 v78, v74, v90 :: v_dual_fma_f32 v69, v68, v69, -v77
	v_mul_f32_e32 v79, v75, v74
	v_cmp_class_f32_e64 s0, v77, 0x204
	v_trunc_f32_e32 v86, v82
	s_delay_alu instid0(VALU_DEP_4) | instskip(SKIP_1) | instid1(VALU_DEP_3)
	v_fmac_f32_e32 v69, v68, v66
	v_sub_f32_e32 v67, v67, v78
	v_cmp_neq_f32_e64 s1, v86, v82
	s_delay_alu instid0(VALU_DEP_3) | instskip(NEXT) | instid1(VALU_DEP_1)
	v_dual_add_f32 v66, v77, v69 :: v_dual_fma_f32 v74, v75, v74, -v79
	v_dual_cndmask_b32 v76, v66, v77, s0 :: v_dual_fmac_f32 v74, v75, v67
	v_cmp_class_f32_e64 s0, v79, 0x204
	s_delay_alu instid0(VALU_DEP_2) | instskip(NEXT) | instid1(VALU_DEP_3)
	v_cmp_neq_f32_e64 s3, 0x7f800000, |v76|
	v_add_f32_e32 v67, v79, v74
	s_delay_alu instid0(VALU_DEP_1) | instskip(SKIP_2) | instid1(VALU_DEP_2)
	v_cndmask_b32_e64 v78, v67, v79, s0
	v_cmp_eq_f32_e64 s0, 0x42b17218, v76
	v_sub_f32_e32 v67, v67, v79
	v_cndmask_b32_e64 v80, 0, 0x37000000, s0
	s_delay_alu instid0(VALU_DEP_1) | instskip(SKIP_1) | instid1(VALU_DEP_2)
	v_sub_f32_e32 v83, v76, v80
	v_cmp_eq_f32_e64 s0, 0x42b17218, v78
	v_mul_f32_e32 v87, 0x3fb8aa3b, v83
	s_delay_alu instid0(VALU_DEP_2) | instskip(SKIP_2) | instid1(VALU_DEP_4)
	v_cndmask_b32_e64 v81, 0, 0x37000000, s0
	v_cmp_eq_f32_e64 s0, v85, v68
	v_trunc_f32_e32 v68, v75
	v_rndne_f32_e32 v89, v87
	s_delay_alu instid0(VALU_DEP_4) | instskip(SKIP_1) | instid1(VALU_DEP_4)
	v_sub_f32_e32 v84, v78, v81
	v_fma_f32 v82, 0x3fb8aa3b, v83, -v87
	v_cmp_eq_f32_e64 s2, v68, v75
	s_and_b32 s1, s0, s1
	v_dual_sub_f32 v87, v87, v89 :: v_dual_mul_f32 v88, 0x3fb8aa3b, v84
	v_cvt_i32_f32_e32 v76, v89
	s_delay_alu instid0(VALU_DEP_2) | instskip(SKIP_2) | instid1(VALU_DEP_3)
	v_fma_f32 v85, 0x3fb8aa3b, v84, -v88
	v_rndne_f32_e32 v86, v88
	v_sub_f32_e32 v66, v66, v77
	v_dual_fmac_f32 v82, 0x32a5705f, v83 :: v_dual_fmac_f32 v85, 0x32a5705f, v84
	s_delay_alu instid0(VALU_DEP_3) | instskip(NEXT) | instid1(VALU_DEP_3)
	v_dual_sub_f32 v77, v88, v86 :: v_dual_mul_f32 v88, 0.5, v75
	v_sub_f32_e32 v66, v69, v66
	s_delay_alu instid0(VALU_DEP_3) | instskip(SKIP_1) | instid1(VALU_DEP_4)
	v_add_f32_e32 v69, v87, v82
	v_cvt_i32_f32_e32 v75, v86
	v_add_f32_e32 v68, v77, v85
	v_trunc_f32_e32 v77, v88
	v_dual_cndmask_b32 v66, 0, v66, s3 :: v_dual_sub_f32 v67, v74, v67
	v_cmp_neq_f32_e64 s3, 0x7f800000, |v78|
	s_delay_alu instid0(VALU_DEP_4) | instskip(SKIP_1) | instid1(VALU_DEP_2)
	v_exp_f32_e32 v68, v68
	v_exp_f32_e32 v69, v69
	v_add_f32_e32 v66, v80, v66
	s_delay_alu instid0(TRANS32_DEP_2) | instskip(SKIP_2) | instid1(TRANS32_DEP_1)
	v_ldexp_f32 v68, v68, v75
	v_cndmask_b32_e64 v67, 0, v67, s3
	v_cmp_ngt_f32_e64 s3, 0xc2ce8ed0, v84
	v_ldexp_f32 v69, v69, v76
	v_cndmask_b32_e64 v76, 0, v64, s1
	s_delay_alu instid0(VALU_DEP_3) | instskip(SKIP_1) | instid1(VALU_DEP_1)
	v_cndmask_b32_e64 v68, 0, v68, s3
	v_cmp_ngt_f32_e64 s3, 0xc2ce8ed0, v83
	v_dual_add_f32 v67, v81, v67 :: v_dual_cndmask_b32 v69, 0, v69, s3
	v_cmp_nlt_f32_e64 s3, 0x42b17218, v84
	s_delay_alu instid0(VALU_DEP_1) | instskip(SKIP_3) | instid1(VALU_DEP_4)
	v_cndmask_b32_e64 v68, 0x7f800000, v68, s3
	v_cmp_nlt_f32_e64 s3, 0x42b17218, v83
	v_cndmask_b32_e64 v74, 1.0, v64, s1
	v_cmp_class_f32_e64 s1, v64, 0x204
	v_fma_f32 v67, v68, v67, v68
	s_delay_alu instid0(VALU_DEP_4) | instskip(SKIP_3) | instid1(SALU_CYCLE_1)
	v_cndmask_b32_e64 v69, 0x7f800000, v69, s3
	v_cmp_neq_f32_e64 s3, v77, v88
	v_cmp_class_f32_e64 s4, v68, 0x204
	s_and_b32 s3, s2, s3
	v_dual_fma_f32 v66, v69, v66, v69 :: v_dual_cndmask_b32 v75, 1.0, v73, s3
	v_cndmask_b32_e64 v67, v67, v68, s4
	v_cmp_class_f32_e64 s4, v69, 0x204
	s_delay_alu instid0(VALU_DEP_1) | instskip(NEXT) | instid1(VALU_DEP_3)
	v_cndmask_b32_e64 v66, v66, v69, s4
	v_bfi_b32 v67, 0x7fffffff, v67, v75
	v_cmp_eq_f32_e64 s4, 0, v64
	v_cndmask_b32_e64 v69, 0x7f800000, 0, s5
	s_delay_alu instid0(VALU_DEP_4) | instskip(NEXT) | instid1(VALU_DEP_4)
	v_bfi_b32 v66, 0x7fffffff, v66, v74
	v_cndmask_b32_e64 v75, 0x7fc00000, v67, s2
	v_cndmask_b32_e64 v74, 0, v73, s3
	;; [unrolled: 1-line block ×3, first 2 shown]
	v_cmp_class_f32_e64 s3, v73, 0x204
	v_cndmask_b32_e64 v77, 0x7fc00000, v66, s0
	v_cmp_gt_f32_e64 s0, 0, v73
	v_bfi_b32 v69, 0x7fffffff, v69, v74
	v_bfi_b32 v68, 0x7fffffff, v68, v76
	s_delay_alu instid0(VALU_DEP_3) | instskip(SKIP_1) | instid1(VALU_DEP_1)
	v_cndmask_b32_e64 v67, v67, v75, s0
	v_cmp_gt_f32_e64 s0, 0, v64
	v_cndmask_b32_e64 v66, v66, v77, s0
	s_or_b32 s0, s5, s3
	s_delay_alu instid0(VALU_DEP_3) | instid1(SALU_CYCLE_1)
	v_cndmask_b32_e64 v67, v67, v69, s0
	s_or_b32 s0, s4, s1
	s_cmp_lg_u32 s15, 29
	v_cndmask_b32_e64 v66, v66, v68, s0
	v_cmp_o_f32_e64 s0, v64, v64
	v_fma_f32 v67, 0x41200000, v67, 1.0
	s_delay_alu instid0(VALU_DEP_2) | instskip(SKIP_1) | instid1(VALU_DEP_1)
	v_cndmask_b32_e64 v64, 0x7fc00000, v66, s0
	v_cmp_o_f32_e64 s0, v73, v73
	v_cndmask_b32_e64 v66, 0x7fc00000, v67, s0
	s_delay_alu instid0(VALU_DEP_1)
	v_fmac_f32_e32 v72, v64, v66
	s_cbranch_scc0 .LBB1_22
; %bb.21:                               ;   in Loop: Header=BB1_16 Depth=1
	s_mov_b32 s3, s15
	s_branch .LBB1_16
.LBB1_22:
	s_delay_alu instid0(VALU_DEP_1)
	v_cmp_lt_f32_e64 s0, v63, v72
	s_and_b32 exec_lo, exec_lo, s0
	s_cbranch_execz .LBB1_154
; %bb.23:
	s_clause 0x7
	global_store_b128 v[60:61], v[0:3], off
	global_store_b128 v[60:61], v[4:7], off offset:16
	global_store_b128 v[60:61], v[8:11], off offset:32
	;; [unrolled: 1-line block ×6, first 2 shown]
	global_store_b64 v[60:61], v[28:29], off offset:112
                                        ; implicit-def: $vgpr31
                                        ; implicit-def: $vgpr30
	s_wait_xcnt 0x0
	s_and_saveexec_b32 s0, s12
	s_delay_alu instid0(SALU_CYCLE_1)
	s_xor_b32 s3, exec_lo, s0
	s_cbranch_execz .LBB1_25
; %bb.24:
	s_mov_b32 s0, 0x7fffff
	v_mov_b32_e32 v31, 0
	v_and_or_b32 v30, v71, s0, 0x800000
	s_mov_b64 s[0:1], 0xfe5163ab
	s_delay_alu instid0(VALU_DEP_1) | instid1(SALU_CYCLE_1)
	v_mul_u64_e32 v[32:33], s[0:1], v[30:31]
	s_delay_alu instid0(VALU_DEP_1) | instskip(SKIP_2) | instid1(VALU_DEP_3)
	v_dual_mov_b32 v34, v33 :: v_dual_mov_b32 v35, v31
	v_dual_mov_b32 v37, v31 :: v_dual_mov_b32 v39, v31
	v_dual_mov_b32 v41, v31 :: v_dual_lshrrev_b32 v33, 23, v71
	v_mad_nc_u64_u32 v[34:35], 0x3c439041, v30, v[34:35]
	s_delay_alu instid0(VALU_DEP_1) | instskip(NEXT) | instid1(VALU_DEP_1)
	v_mov_b32_e32 v36, v35
	v_mad_nc_u64_u32 v[36:37], 0xdb629599, v30, v[36:37]
	s_delay_alu instid0(VALU_DEP_1) | instskip(NEXT) | instid1(VALU_DEP_1)
	v_mov_b32_e32 v38, v37
	;; [unrolled: 3-line block ×3, first 2 shown]
	v_mad_nc_u64_u32 v[40:41], 0xfc2757d1, v30, v[40:41]
	s_delay_alu instid0(VALU_DEP_1) | instskip(NEXT) | instid1(VALU_DEP_1)
	v_dual_mov_b32 v43, v31 :: v_dual_mov_b32 v42, v41
	v_mad_nc_u64_u32 v[42:43], 0x4e441529, v30, v[42:43]
	s_delay_alu instid0(VALU_DEP_1) | instskip(NEXT) | instid1(VALU_DEP_1)
	v_dual_mov_b32 v44, v43 :: v_dual_add_nc_u32 v33, 0xffffff88, v33
	v_cmp_lt_u32_e64 s0, 63, v33
	v_mov_b32_e32 v45, v31
	s_delay_alu instid0(VALU_DEP_2) | instskip(NEXT) | instid1(VALU_DEP_2)
	v_cndmask_b32_e64 v35, 0, 0xffffffc0, s0
	v_mad_nc_u64_u32 v[30:31], 0xa2f9836e, v30, v[44:45]
	v_dual_cndmask_b32 v37, v42, v38, s0 :: v_dual_cndmask_b32 v39, v40, v36, s0
	s_delay_alu instid0(VALU_DEP_3) | instskip(SKIP_1) | instid1(VALU_DEP_2)
	v_dual_cndmask_b32 v34, v38, v34, s0 :: v_dual_add_nc_u32 v33, v35, v33
	v_cndmask_b32_e64 v32, v36, v32, s0
	v_cmp_lt_u32_e64 s1, 31, v33
	v_dual_cndmask_b32 v30, v30, v40, s0 :: v_dual_cndmask_b32 v31, v31, v42, s0
	s_delay_alu instid0(VALU_DEP_2) | instskip(NEXT) | instid1(VALU_DEP_4)
	v_cndmask_b32_e64 v35, 0, 0xffffffe0, s1
	v_dual_cndmask_b32 v38, v39, v34, s1 :: v_dual_cndmask_b32 v32, v34, v32, s1
	s_delay_alu instid0(VALU_DEP_2) | instskip(NEXT) | instid1(VALU_DEP_1)
	v_add_nc_u32_e32 v33, v35, v33
	v_cmp_lt_u32_e64 s2, 31, v33
	s_delay_alu instid0(VALU_DEP_1) | instskip(NEXT) | instid1(VALU_DEP_1)
	v_cndmask_b32_e64 v35, 0, 0xffffffe0, s2
	v_dual_cndmask_b32 v32, v38, v32, s2 :: v_dual_add_nc_u32 v33, v35, v33
	v_dual_cndmask_b32 v35, v30, v37, s1 :: v_dual_cndmask_b32 v30, v31, v30, s1
	s_delay_alu instid0(VALU_DEP_2) | instskip(SKIP_1) | instid1(VALU_DEP_3)
	v_dual_cndmask_b32 v31, v37, v39, s1 :: v_dual_sub_nc_u32 v37, 32, v33
	v_cmp_eq_u32_e64 s0, 0, v33
	v_cndmask_b32_e64 v30, v30, v35, s2
	s_delay_alu instid0(VALU_DEP_3) | instskip(SKIP_1) | instid1(VALU_DEP_2)
	v_cndmask_b32_e64 v35, v35, v31, s2
	v_cndmask_b32_e64 v31, v31, v38, s2
	v_alignbit_b32 v39, v30, v35, v37
	s_delay_alu instid0(VALU_DEP_2) | instskip(SKIP_1) | instid1(VALU_DEP_2)
	v_alignbit_b32 v36, v35, v31, v37
	v_alignbit_b32 v37, v31, v32, v37
	v_dual_cndmask_b32 v30, v39, v30, s0 :: v_dual_cndmask_b32 v33, v36, v35, s0
	s_delay_alu instid0(VALU_DEP_2) | instskip(NEXT) | instid1(VALU_DEP_2)
	v_cndmask_b32_e64 v31, v37, v31, s0
	v_bfe_u32 v34, v30, 29, 1
	s_delay_alu instid0(VALU_DEP_3) | instskip(NEXT) | instid1(VALU_DEP_3)
	v_alignbit_b32 v35, v30, v33, 30
	v_alignbit_b32 v33, v33, v31, 30
	v_alignbit_b32 v31, v31, v32, 30
	s_delay_alu instid0(VALU_DEP_4) | instskip(NEXT) | instid1(VALU_DEP_1)
	v_sub_nc_u32_e32 v36, 0, v34
	v_xor_b32_e32 v35, v35, v36
	s_delay_alu instid0(VALU_DEP_4) | instskip(NEXT) | instid1(VALU_DEP_4)
	v_xor_b32_e32 v32, v33, v36
	v_dual_lshrrev_b32 v36, 29, v30 :: v_dual_bitop2_b32 v31, v31, v36 bitop3:0x14
	s_delay_alu instid0(VALU_DEP_3) | instskip(NEXT) | instid1(VALU_DEP_1)
	v_clz_i32_u32_e32 v37, v35
	v_min_u32_e32 v37, 32, v37
	s_delay_alu instid0(VALU_DEP_1) | instskip(NEXT) | instid1(VALU_DEP_1)
	v_dual_sub_nc_u32 v33, 31, v37 :: v_dual_lshlrev_b32 v38, 23, v37
	v_alignbit_b32 v35, v35, v32, v33
	v_alignbit_b32 v31, v32, v31, v33
	v_lshlrev_b32_e32 v32, 31, v36
	s_delay_alu instid0(VALU_DEP_2) | instskip(NEXT) | instid1(VALU_DEP_2)
	v_alignbit_b32 v33, v35, v31, 9
	v_dual_lshrrev_b32 v35, 9, v35 :: v_dual_bitop2_b32 v36, 0.5, v32 bitop3:0x54
	v_or_b32_e32 v32, 0x33000000, v32
	s_delay_alu instid0(VALU_DEP_3) | instskip(NEXT) | instid1(VALU_DEP_3)
	v_clz_i32_u32_e32 v39, v33
	v_sub_nc_u32_e32 v36, v36, v38
	s_delay_alu instid0(VALU_DEP_2) | instskip(NEXT) | instid1(VALU_DEP_1)
	v_min_u32_e32 v38, 32, v39
	v_add_lshl_u32 v37, v38, v37, 23
	s_delay_alu instid0(VALU_DEP_3) | instskip(SKIP_1) | instid1(VALU_DEP_2)
	v_or_b32_e32 v35, v35, v36
	v_not_b32_e32 v36, v38
	v_dual_mul_f32 v39, 0x3fc90fda, v35 :: v_dual_sub_nc_u32 v32, v32, v37
	s_delay_alu instid0(VALU_DEP_2) | instskip(NEXT) | instid1(VALU_DEP_2)
	v_alignbit_b32 v31, v33, v31, v36
	v_fma_f32 v33, 0x3fc90fda, v35, -v39
	s_delay_alu instid0(VALU_DEP_2) | instskip(NEXT) | instid1(VALU_DEP_2)
	v_lshrrev_b32_e32 v31, 9, v31
	v_fmamk_f32 v33, v35, 0x33a22168, v33
	s_delay_alu instid0(VALU_DEP_2) | instskip(NEXT) | instid1(VALU_DEP_1)
	v_or_b32_e32 v31, v32, v31
	v_fmac_f32_e32 v33, 0x3fc90fda, v31
	s_delay_alu instid0(VALU_DEP_1) | instskip(NEXT) | instid1(VALU_DEP_1)
	v_dual_add_f32 v30, v39, v33 :: v_dual_lshrrev_b32 v31, 30, v30
	v_add_nc_u32_e32 v31, v34, v31
.LBB1_25:
	s_and_not1_saveexec_b32 s0, s3
; %bb.26:
	v_mul_f32_e64 v30, 0x3f22f983, |v70|
	s_delay_alu instid0(VALU_DEP_1) | instskip(NEXT) | instid1(VALU_DEP_1)
	v_rndne_f32_e32 v31, v30
	v_fma_f32 v30, 0xbfc90fda, v31, |v70|
	s_delay_alu instid0(VALU_DEP_1) | instskip(NEXT) | instid1(VALU_DEP_1)
	v_fmamk_f32 v30, v31, 0xb3a22168, v30
	v_fmamk_f32 v30, v31, 0xa7c234c4, v30
	v_cvt_i32_f32_e32 v31, v31
; %bb.27:
	s_or_b32 exec_lo, exec_lo, s0
	s_delay_alu instid0(VALU_DEP_1) | instskip(SKIP_3) | instid1(VALU_DEP_1)
	v_dual_mul_f32 v32, v30, v30 :: v_dual_bitop2_b32 v35, 1, v31 bitop3:0x40
	s_mov_b32 s5, 0xb94c1982
	s_mov_b32 s12, 0x37d75334
	;; [unrolled: 1-line block ×3, first 2 shown]
	v_fmaak_f32 v33, s5, v32, 0x3c0881c4
	v_cmp_eq_u32_e64 s0, 0, v35
	s_mov_b64 s[8:9], 0xfe5163ab
	s_mov_b64 s[10:11], 1
	s_mov_b32 s14, 0x7fffff
	v_fmaak_f32 v33, v32, v33, 0xbe2aaa9d
	v_dual_fmaak_f32 v34, s12, v32, 0xbab64f3b :: v_dual_lshlrev_b32 v31, 30, v31
	s_delay_alu instid0(VALU_DEP_1) | instskip(NEXT) | instid1(VALU_DEP_2)
	v_dual_mul_f32 v33, v32, v33 :: v_dual_fmaak_f32 v34, v32, v34, 0x3d2aabf7
	v_bitop3_b32 v31, v71, v31, 0x80000000 bitop3:0x78
	s_delay_alu instid0(VALU_DEP_2) | instskip(NEXT) | instid1(VALU_DEP_3)
	v_fmac_f32_e32 v30, v30, v33
	v_fmaak_f32 v34, v32, v34, 0xbf000004
	s_delay_alu instid0(VALU_DEP_1) | instskip(NEXT) | instid1(VALU_DEP_1)
	v_fma_f32 v32, v32, v34, 1.0
	v_cndmask_b32_e64 v30, v32, v30, s0
	s_delay_alu instid0(VALU_DEP_1) | instskip(NEXT) | instid1(VALU_DEP_1)
	v_xor3_b32 v30, v31, v30, v70
	v_cndmask_b32_e32 v30, 0x7fc00000, v30, vcc_lo
	s_delay_alu instid0(VALU_DEP_1) | instskip(NEXT) | instid1(VALU_DEP_1)
	v_frexp_mant_f32_e64 v31, |v30|
	v_cmp_gt_f32_e32 vcc_lo, 0x3f2aaaab, v31
	v_cndmask_b32_e64 v32, 1.0, 2.0, vcc_lo
	s_delay_alu instid0(VALU_DEP_1) | instskip(NEXT) | instid1(VALU_DEP_1)
	v_mul_f32_e32 v31, v31, v32
	v_dual_add_f32 v32, 1.0, v31 :: v_dual_add_f32 v33, -1.0, v31
	s_delay_alu instid0(VALU_DEP_1)
	v_rcp_f32_e32 v38, v32
	v_add_f32_e32 v35, -1.0, v32
	s_delay_alu instid0(TRANS32_DEP_1) | instid1(VALU_DEP_1)
	v_dual_sub_f32 v31, v31, v35 :: v_dual_mul_f32 v39, v33, v38
	s_delay_alu instid0(VALU_DEP_1) | instskip(NEXT) | instid1(VALU_DEP_1)
	v_mul_f32_e32 v34, v32, v39
	v_fma_f32 v36, v39, v32, -v34
	s_delay_alu instid0(VALU_DEP_1) | instskip(NEXT) | instid1(VALU_DEP_1)
	v_fmac_f32_e32 v36, v39, v31
	v_add_f32_e32 v32, v34, v36
	s_delay_alu instid0(VALU_DEP_1) | instskip(NEXT) | instid1(VALU_DEP_1)
	v_dual_sub_f32 v35, v33, v32 :: v_dual_mov_b32 v37, v32
	v_pk_add_f32 v[32:33], v[32:33], v[34:35] neg_lo:[0,1] neg_hi:[0,1]
	s_delay_alu instid0(VALU_DEP_1) | instskip(NEXT) | instid1(VALU_DEP_1)
	v_pk_add_f32 v[32:33], v[32:33], v[36:37] neg_lo:[0,1] neg_hi:[0,1]
	v_add_f32_e32 v31, v32, v33
	s_delay_alu instid0(VALU_DEP_1) | instskip(NEXT) | instid1(VALU_DEP_1)
	v_add_f32_e32 v31, v35, v31
	v_mul_f32_e32 v31, v38, v31
	s_delay_alu instid0(VALU_DEP_1) | instskip(NEXT) | instid1(VALU_DEP_1)
	v_add_f32_e32 v32, v39, v31
	v_dual_sub_f32 v33, v32, v39 :: v_dual_mul_f32 v35, v32, v32
	s_delay_alu instid0(VALU_DEP_1) | instskip(NEXT) | instid1(VALU_DEP_1)
	v_dual_sub_f32 v31, v31, v33 :: v_dual_fma_f32 v33, v32, v32, -v35
	v_add_f32_e32 v34, v31, v31
	s_delay_alu instid0(VALU_DEP_1) | instskip(NEXT) | instid1(VALU_DEP_1)
	v_fmac_f32_e32 v33, v32, v34
	v_add_f32_e32 v34, v35, v33
	s_delay_alu instid0(VALU_DEP_1) | instskip(NEXT) | instid1(VALU_DEP_1)
	v_sub_f32_e32 v35, v34, v35
	v_sub_f32_e32 v42, v33, v35
	v_fmaak_f32 v36, s13, v34, 0x3e91f4c4
	s_delay_alu instid0(VALU_DEP_1) | instskip(SKIP_1) | instid1(VALU_DEP_2)
	v_fmaak_f32 v38, v34, v36, 0x3ecccdef
	v_cvt_f64_f32_e64 v[36:37], |v30|
	v_mul_f32_e32 v39, v34, v38
	s_delay_alu instid0(VALU_DEP_1) | instskip(NEXT) | instid1(VALU_DEP_1)
	v_fma_f32 v33, v34, v38, -v39
	v_fmac_f32_e32 v33, v42, v38
	s_delay_alu instid0(VALU_DEP_1) | instskip(NEXT) | instid1(VALU_DEP_1)
	v_add_f32_e32 v35, v39, v33
	v_sub_f32_e32 v38, v35, v39
	v_add_f32_e32 v39, 0x3f2aaaaa, v35
	s_delay_alu instid0(VALU_DEP_1) | instskip(SKIP_1) | instid1(VALU_DEP_2)
	v_dual_sub_f32 v33, v33, v38 :: v_dual_add_f32 v38, 0xbf2aaaaa, v39
	v_frexp_exp_i32_f64_e32 v43, v[36:37]
	v_add_f32_e32 v33, 0x31739010, v33
	s_delay_alu instid0(VALU_DEP_3) | instskip(NEXT) | instid1(VALU_DEP_1)
	v_sub_f32_e32 v35, v35, v38
	v_pk_mul_f32 v[36:37], v[32:33], v[34:35]
	s_delay_alu instid0(VALU_DEP_1) | instskip(SKIP_1) | instid1(VALU_DEP_1)
	v_fma_f32 v38, v34, v32, -v36
	v_pk_add_f32 v[40:41], v[32:33], v[34:35]
	v_dual_fmac_f32 v38, v34, v31 :: v_dual_mov_b32 v37, v41
	v_ldexp_f32 v31, v31, 1
	s_delay_alu instid0(VALU_DEP_2) | instskip(NEXT) | instid1(VALU_DEP_1)
	v_fmac_f32_e32 v38, v42, v32
	v_pk_add_f32 v[34:35], v[36:37], v[38:39]
	v_subrev_co_ci_u32_e64 v33, null, 0, v43, vcc_lo
	s_delay_alu instid0(VALU_DEP_2) | instskip(NEXT) | instid1(VALU_DEP_3)
	v_mov_b32_e32 v40, v35
	v_dual_sub_f32 v37, v39, v35 :: v_dual_sub_f32 v39, v34, v36
	s_delay_alu instid0(VALU_DEP_3) | instskip(SKIP_1) | instid1(VALU_DEP_4)
	v_cvt_f32_i32_e32 v33, v33
	v_cmp_eq_f32_e32 vcc_lo, 1.0, v30
	v_pk_mul_f32 v[42:43], v[34:35], v[40:41]
	s_delay_alu instid0(VALU_DEP_4) | instskip(NEXT) | instid1(VALU_DEP_2)
	v_dual_add_f32 v37, v41, v37 :: v_dual_sub_f32 v38, v38, v39
	v_fma_f32 v36, v34, v35, -v42
	s_delay_alu instid0(VALU_DEP_1) | instskip(NEXT) | instid1(VALU_DEP_1)
	v_fmac_f32_e32 v36, v34, v37
	v_fmac_f32_e32 v36, v38, v35
	v_mul_f32_e32 v40, 0x3f317218, v33
	v_ldexp_f32 v35, v32, 1
	s_delay_alu instid0(VALU_DEP_3) | instskip(NEXT) | instid1(VALU_DEP_3)
	v_add_f32_e32 v41, v42, v36
	v_fma_f32 v34, 0x3f317218, v33, -v40
	s_delay_alu instid0(VALU_DEP_2) | instskip(NEXT) | instid1(VALU_DEP_2)
	v_dual_mov_b32 v43, v35 :: v_dual_mov_b32 v37, v41
	v_fmac_f32_e32 v34, 0xb102e308, v33
	v_mov_b32_e32 v38, v41
	s_delay_alu instid0(VALU_DEP_2) | instskip(NEXT) | instid1(VALU_DEP_1)
	v_pk_add_f32 v[32:33], v[40:41], v[34:35]
	v_dual_mov_b32 v39, v33 :: v_dual_mov_b32 v35, v32
	v_mov_b32_e32 v46, v33
	s_delay_alu instid0(VALU_DEP_2) | instskip(NEXT) | instid1(VALU_DEP_1)
	v_pk_add_f32 v[38:39], v[38:39], v[42:43] neg_lo:[0,1] neg_hi:[0,1]
	v_pk_add_f32 v[36:37], v[36:37], v[38:39] neg_lo:[0,1] neg_hi:[0,1]
	s_delay_alu instid0(VALU_DEP_1) | instskip(NEXT) | instid1(VALU_DEP_1)
	v_add_f32_e32 v31, v31, v36
	v_add_f32_e32 v41, v31, v37
	s_delay_alu instid0(VALU_DEP_1) | instskip(SKIP_1) | instid1(VALU_DEP_2)
	v_pk_add_f32 v[36:37], v[32:33], v[40:41]
	v_pk_add_f32 v[38:39], v[32:33], v[40:41] neg_lo:[0,1] neg_hi:[0,1]
	v_mov_b32_e32 v39, v37
	s_delay_alu instid0(VALU_DEP_1) | instskip(SKIP_1) | instid1(VALU_DEP_2)
	v_pk_add_f32 v[42:43], v[34:35], v[38:39]
	v_pk_add_f32 v[34:35], v[34:35], v[38:39] neg_lo:[0,1] neg_hi:[0,1]
	v_dual_mov_b32 v40, v43 :: v_dual_mov_b32 v35, v43
	s_delay_alu instid0(VALU_DEP_1) | instskip(SKIP_1) | instid1(VALU_DEP_2)
	v_pk_add_f32 v[44:45], v[40:41], v[32:33] neg_lo:[0,1] neg_hi:[0,1]
	v_dual_mov_b32 v42, v37 :: v_dual_mov_b32 v33, v32
	v_dual_mov_b32 v32, v41 :: v_dual_mov_b32 v47, v44
	v_mov_b32_e32 v31, v44
	s_delay_alu instid0(VALU_DEP_2) | instskip(NEXT) | instid1(VALU_DEP_2)
	v_pk_add_f32 v[38:39], v[42:43], v[46:47] neg_lo:[0,1] neg_hi:[0,1]
	v_pk_add_f32 v[36:37], v[36:37], v[30:31] neg_lo:[0,1] neg_hi:[0,1]
	v_mov_b32_e32 v36, v34
	s_delay_alu instid0(VALU_DEP_3) | instskip(NEXT) | instid1(VALU_DEP_1)
	v_pk_add_f32 v[32:33], v[32:33], v[38:39] neg_lo:[0,1] neg_hi:[0,1]
	v_pk_add_f32 v[36:37], v[36:37], v[32:33]
	s_delay_alu instid0(VALU_DEP_1) | instskip(NEXT) | instid1(VALU_DEP_1)
	v_mov_b32_e32 v38, v37
	v_pk_add_f32 v[38:39], v[36:37], v[38:39]
	s_delay_alu instid0(VALU_DEP_1) | instskip(NEXT) | instid1(VALU_DEP_1)
	v_pk_add_f32 v[40:41], v[40:41], v[38:39]
	v_dual_mov_b32 v33, v38 :: v_dual_mov_b32 v37, v40
	s_delay_alu instid0(VALU_DEP_1) | instskip(NEXT) | instid1(VALU_DEP_1)
	v_pk_add_f32 v[42:43], v[36:37], v[34:35] neg_lo:[0,1] neg_hi:[0,1]
	v_sub_f32_e32 v31, v36, v42
	s_delay_alu instid0(VALU_DEP_2) | instskip(NEXT) | instid1(VALU_DEP_2)
	v_pk_add_f32 v[32:33], v[32:33], v[42:43] neg_lo:[0,1] neg_hi:[0,1]
	v_sub_f32_e32 v31, v34, v31
	s_delay_alu instid0(VALU_DEP_1) | instskip(NEXT) | instid1(VALU_DEP_1)
	v_add_f32_e32 v31, v32, v31
	v_add_f32_e32 v31, v31, v33
	v_cndmask_b32_e64 v33, 2.0, 1.0, vcc_lo
	s_delay_alu instid0(VALU_DEP_2) | instskip(NEXT) | instid1(VALU_DEP_1)
	v_add_f32_e32 v32, v40, v31
	v_sub_f32_e32 v34, v32, v40
	s_delay_alu instid0(VALU_DEP_1) | instskip(NEXT) | instid1(VALU_DEP_1)
	v_dual_sub_f32 v31, v31, v34 :: v_dual_mul_f32 v35, v33, v32
	v_fma_f32 v32, v33, v32, -v35
	v_cmp_class_f32_e64 vcc_lo, v35, 0x204
	s_delay_alu instid0(VALU_DEP_2) | instskip(NEXT) | instid1(VALU_DEP_1)
	v_fmac_f32_e32 v32, v33, v31
	v_add_f32_e32 v31, v35, v32
	s_delay_alu instid0(VALU_DEP_1) | instskip(NEXT) | instid1(VALU_DEP_1)
	v_cndmask_b32_e32 v34, v31, v35, vcc_lo
	v_cmp_eq_f32_e32 vcc_lo, 0x42b17218, v34
	v_cndmask_b32_e64 v36, 0, 0x37000000, vcc_lo
	s_delay_alu instid0(VALU_DEP_1) | instskip(NEXT) | instid1(VALU_DEP_1)
	v_sub_f32_e32 v37, v34, v36
	v_dual_mul_f32 v38, 0x3fb8aa3b, v37 :: v_dual_sub_f32 v31, v31, v35
	s_delay_alu instid0(VALU_DEP_1) | instskip(SKIP_1) | instid1(VALU_DEP_1)
	v_fma_f32 v39, 0x3fb8aa3b, v37, -v38
	v_rndne_f32_e32 v40, v38
	v_dual_fmac_f32 v39, 0x32a5705f, v37 :: v_dual_sub_f32 v38, v38, v40
	s_delay_alu instid0(VALU_DEP_4) | instskip(SKIP_2) | instid1(VALU_DEP_4)
	v_sub_f32_e32 v31, v32, v31
	v_cmp_neq_f32_e64 vcc_lo, 0x7f800000, |v34|
	v_trunc_f32_e32 v34, v33
	v_add_f32_e32 v38, v38, v39
	s_delay_alu instid0(VALU_DEP_4) | instskip(SKIP_1) | instid1(VALU_DEP_3)
	v_cndmask_b32_e32 v31, 0, v31, vcc_lo
	v_cmp_ngt_f32_e32 vcc_lo, 0xc2ce8ed0, v37
	v_exp_f32_e32 v35, v38
	v_nop
	v_cvt_i32_f32_e32 v38, v40
	s_delay_alu instid0(TRANS32_DEP_1) | instid1(VALU_DEP_1)
	v_ldexp_f32 v32, v35, v38
	s_delay_alu instid0(VALU_DEP_1) | instskip(NEXT) | instid1(VALU_DEP_1)
	v_dual_mul_f32 v35, 0.5, v33 :: v_dual_cndmask_b32 v32, 0, v32
	v_trunc_f32_e32 v38, v35
	v_cmp_nlt_f32_e32 vcc_lo, 0x42b17218, v37
	s_delay_alu instid0(VALU_DEP_2) | instskip(NEXT) | instid1(VALU_DEP_4)
	v_cmp_neq_f32_e64 s0, v38, v35
	v_cndmask_b32_e32 v32, 0x7f800000, v32, vcc_lo
	v_cmp_eq_f32_e32 vcc_lo, v34, v33
	s_delay_alu instid0(VALU_DEP_2) | instskip(SKIP_1) | instid1(SALU_CYCLE_1)
	v_cmp_class_f32_e64 s1, v32, 0x204
	s_and_b32 s0, vcc_lo, s0
	v_dual_cndmask_b32 v33, 1.0, v30, s0 :: v_dual_add_f32 v31, v36, v31
	s_delay_alu instid0(VALU_DEP_1) | instskip(NEXT) | instid1(VALU_DEP_1)
	v_fma_f32 v31, v32, v31, v32
	v_cndmask_b32_e64 v31, v31, v32, s1
	v_cmp_eq_f32_e64 s1, 0, v30
	s_delay_alu instid0(VALU_DEP_2) | instskip(NEXT) | instid1(VALU_DEP_2)
	v_bfi_b32 v31, 0x7fffffff, v31, v33
	v_cndmask_b32_e64 v32, 0x7f800000, 0, s1
	v_cndmask_b32_e64 v33, 0, v30, s0
	v_cmp_class_f32_e64 s0, v30, 0x204
	s_delay_alu instid0(VALU_DEP_4) | instskip(SKIP_1) | instid1(VALU_DEP_4)
	v_cndmask_b32_e32 v34, 0x7fc00000, v31, vcc_lo
	v_cmp_gt_f32_e32 vcc_lo, 0, v30
	v_bfi_b32 v32, 0x7fffffff, v32, v33
	s_delay_alu instid0(VALU_DEP_3) | instskip(SKIP_1) | instid1(VALU_DEP_1)
	v_cndmask_b32_e32 v31, v31, v34, vcc_lo
	s_or_b32 vcc_lo, s1, s0
	v_cndmask_b32_e32 v31, v31, v32, vcc_lo
	v_cmp_o_f32_e32 vcc_lo, v30, v30
	s_delay_alu instid0(VALU_DEP_2) | instskip(NEXT) | instid1(VALU_DEP_1)
	v_dual_cndmask_b32 v30, 0x7fc00000, v31 :: v_dual_mov_b32 v31, 0
	v_add_f32_e32 v36, v62, v30
	s_branch .LBB1_29
.LBB1_28:                               ;   in Loop: Header=BB1_29 Depth=1
	s_or_b32 exec_lo, exec_lo, s0
	s_delay_alu instid0(VALU_DEP_2) | instskip(NEXT) | instid1(VALU_DEP_2)
	v_mul_f32_e32 v35, v30, v30
	v_and_b32_e32 v39, 1, v34
	s_add_co_i32 m0, s10, -1
	v_xor_b32_e32 v33, v33, v32
	s_add_nc_u64 s[10:11], s[10:11], 1
	v_dual_fmaak_f32 v37, s5, v35, 0x3c0881c4 :: v_dual_lshlrev_b32 v34, 30, v34
	v_cmp_eq_u32_e32 vcc_lo, 0, v39
	s_delay_alu instid0(VALU_DEP_2) | instskip(NEXT) | instid1(VALU_DEP_3)
	v_fmaak_f32 v37, v35, v37, 0xbe2aaa9d
	v_and_b32_e32 v34, 0x80000000, v34
	s_delay_alu instid0(VALU_DEP_2) | instskip(NEXT) | instid1(VALU_DEP_1)
	v_mul_f32_e32 v37, v35, v37
	v_fmac_f32_e32 v30, v30, v37
	v_movrels_b32_e32 v37, v0
	v_fmaak_f32 v38, s12, v35, 0xbab64f3b
	s_delay_alu instid0(VALU_DEP_1) | instskip(NEXT) | instid1(VALU_DEP_1)
	v_fmaak_f32 v38, v35, v38, 0x3d2aabf7
	v_fmaak_f32 v38, v35, v38, 0xbf000004
	s_delay_alu instid0(VALU_DEP_1) | instskip(NEXT) | instid1(VALU_DEP_1)
	v_fma_f32 v35, v35, v38, 1.0
	v_cndmask_b32_e32 v30, v35, v30, vcc_lo
	v_cmp_class_f32_e64 vcc_lo, v32, 0x1f8
	v_add_f32_e32 v35, -1.0, v37
	s_delay_alu instid0(VALU_DEP_3) | instskip(NEXT) | instid1(VALU_DEP_2)
	v_xor3_b32 v30, v33, v34, v30
	v_fma_f32 v33, 0x3e800000, v35, 1.0
	s_delay_alu instid0(VALU_DEP_1) | instskip(NEXT) | instid1(VALU_DEP_1)
	v_dual_cndmask_b32 v30, 0x7fc00000, v30 :: v_dual_add_f32 v37, -1.0, v33
	v_frexp_mant_f32_e64 v32, |v30|
	s_delay_alu instid0(VALU_DEP_2) | instskip(SKIP_1) | instid1(VALU_DEP_3)
	v_frexp_mant_f32_e64 v33, |v37|
	v_cmp_class_f32_e64 s15, v37, 0x204
	v_cmp_gt_f32_e32 vcc_lo, 0x3f2aaaab, v32
	s_delay_alu instid0(VALU_DEP_3) | instskip(SKIP_1) | instid1(VALU_DEP_2)
	v_cmp_gt_f32_e64 s0, 0x3f2aaaab, v33
	v_cndmask_b32_e64 v34, 1.0, 2.0, vcc_lo
	v_cndmask_b32_e64 v35, 1.0, 2.0, s0
	s_delay_alu instid0(VALU_DEP_2) | instskip(NEXT) | instid1(VALU_DEP_1)
	v_mul_f32_e32 v32, v32, v34
	v_add_f32_e32 v39, 1.0, v32
	s_delay_alu instid0(VALU_DEP_1) | instskip(NEXT) | instid1(VALU_DEP_3)
	v_rcp_f32_e32 v46, v39
	v_dual_mul_f32 v34, v33, v35 :: v_dual_add_f32 v33, -1.0, v32
	s_delay_alu instid0(TRANS32_DEP_1) | instid1(VALU_DEP_1)
	v_mul_f32_e32 v48, v33, v46
	s_delay_alu instid0(VALU_DEP_2) | instskip(NEXT) | instid1(VALU_DEP_2)
	v_dual_add_f32 v41, 1.0, v34 :: v_dual_add_f32 v35, -1.0, v34
	v_dual_add_f32 v42, -1.0, v39 :: v_dual_mul_f32 v38, v39, v48
	s_delay_alu instid0(VALU_DEP_2) | instskip(NEXT) | instid1(VALU_DEP_1)
	v_rcp_f32_e32 v47, v41
	v_dual_add_f32 v43, -1.0, v41 :: v_dual_sub_f32 v32, v32, v42
	s_delay_alu instid0(TRANS32_DEP_1) | instskip(NEXT) | instid1(VALU_DEP_1)
	v_mul_f32_e32 v49, v35, v47
	v_dual_mul_f32 v40, v41, v49 :: v_dual_fma_f32 v42, v48, v39, -v38
	s_delay_alu instid0(VALU_DEP_1) | instskip(NEXT) | instid1(VALU_DEP_1)
	v_dual_fma_f32 v44, v49, v41, -v40 :: v_dual_sub_f32 v34, v34, v43
	v_dual_fmac_f32 v42, v48, v32 :: v_dual_fmac_f32 v44, v49, v34
	s_delay_alu instid0(VALU_DEP_1) | instskip(NEXT) | instid1(VALU_DEP_1)
	v_dual_add_f32 v32, v38, v42 :: v_dual_add_f32 v34, v40, v44
	v_dual_sub_f32 v39, v33, v32 :: v_dual_mov_b32 v43, v32
	s_delay_alu instid0(VALU_DEP_2) | instskip(NEXT) | instid1(VALU_DEP_2)
	v_sub_f32_e32 v41, v35, v34
	v_pk_add_f32 v[32:33], v[32:33], v[38:39] neg_lo:[0,1] neg_hi:[0,1]
	s_delay_alu instid0(VALU_DEP_1) | instskip(SKIP_1) | instid1(VALU_DEP_4)
	v_pk_add_f32 v[32:33], v[32:33], v[42:43] neg_lo:[0,1] neg_hi:[0,1]
	v_mov_b32_e32 v45, v34
	v_pk_add_f32 v[34:35], v[34:35], v[40:41] neg_lo:[0,1] neg_hi:[0,1]
	s_delay_alu instid0(VALU_DEP_3) | instskip(NEXT) | instid1(VALU_DEP_2)
	v_add_f32_e32 v32, v32, v33
	v_pk_add_f32 v[34:35], v[34:35], v[44:45] neg_lo:[0,1] neg_hi:[0,1]
	v_cvt_f64_f32_e64 v[44:45], |v30|
	s_delay_alu instid0(VALU_DEP_2) | instskip(NEXT) | instid1(VALU_DEP_1)
	v_dual_add_f32 v32, v39, v32 :: v_dual_add_f32 v33, v34, v35
	v_dual_mul_f32 v35, v46, v32 :: v_dual_add_f32 v33, v41, v33
	s_delay_alu instid0(VALU_DEP_1) | instskip(NEXT) | instid1(VALU_DEP_1)
	v_dual_add_f32 v34, v48, v35 :: v_dual_mul_f32 v33, v47, v33
	v_dual_sub_f32 v38, v34, v48 :: v_dual_mul_f32 v41, v34, v34
	s_delay_alu instid0(VALU_DEP_1) | instskip(NEXT) | instid1(VALU_DEP_1)
	v_dual_add_f32 v32, v49, v33 :: v_dual_sub_f32 v60, v35, v38
	v_dual_mul_f32 v35, v32, v32 :: v_dual_sub_f32 v39, v32, v49
	s_delay_alu instid0(VALU_DEP_1) | instskip(NEXT) | instid1(VALU_DEP_3)
	v_dual_sub_f32 v61, v33, v39 :: v_dual_fma_f32 v33, v34, v34, -v41
	v_add_f32_e32 v40, v60, v60
	v_cvt_f64_f32_e64 v[38:39], |v37|
	v_frexp_exp_i32_f64_e32 v54, v[44:45]
	s_delay_alu instid0(VALU_DEP_3) | instskip(NEXT) | instid1(VALU_DEP_1)
	v_dual_add_f32 v42, v61, v61 :: v_dual_fmac_f32 v33, v34, v40
	v_dual_fma_f32 v43, v32, v32, -v35 :: v_dual_add_f32 v40, v41, v33
	s_delay_alu instid0(VALU_DEP_1) | instskip(NEXT) | instid1(VALU_DEP_1)
	v_fmac_f32_e32 v43, v32, v42
	v_dual_sub_f32 v41, v40, v41 :: v_dual_add_f32 v42, v35, v43
	v_fmaak_f32 v46, s13, v40, 0x3e91f4c4
	s_delay_alu instid0(VALU_DEP_2) | instskip(NEXT) | instid1(VALU_DEP_2)
	v_dual_sub_f32 v52, v33, v41 :: v_dual_fmaak_f32 v47, s13, v42, 0x3e91f4c4
	v_dual_fmaak_f32 v46, v40, v46, 0x3ecccdef :: v_dual_sub_f32 v35, v42, v35
	s_delay_alu instid0(VALU_DEP_1) | instskip(NEXT) | instid1(VALU_DEP_2)
	v_dual_fmaak_f32 v47, v42, v47, 0x3ecccdef :: v_dual_mul_f32 v48, v40, v46
	v_sub_f32_e32 v53, v43, v35
	s_delay_alu instid0(VALU_DEP_2) | instskip(NEXT) | instid1(VALU_DEP_1)
	v_dual_mul_f32 v49, v42, v47 :: v_dual_fma_f32 v33, v40, v46, -v48
	v_fmac_f32_e32 v33, v52, v46
	s_delay_alu instid0(VALU_DEP_2) | instskip(SKIP_1) | instid1(VALU_DEP_2)
	v_fma_f32 v35, v42, v47, -v49
	v_frexp_exp_i32_f64_e32 v46, v[38:39]
	v_dual_add_f32 v38, v48, v33 :: v_dual_fmac_f32 v35, v53, v47
	s_delay_alu instid0(VALU_DEP_1) | instskip(SKIP_1) | instid1(VALU_DEP_2)
	v_dual_sub_f32 v41, v38, v48 :: v_dual_add_f32 v43, v49, v35
	v_add_f32_e32 v39, 0x3f2aaaaa, v38
	v_sub_f32_e32 v33, v33, v41
	s_delay_alu instid0(VALU_DEP_3) | instskip(NEXT) | instid1(VALU_DEP_1)
	v_dual_sub_f32 v48, v43, v49 :: v_dual_add_f32 v47, 0x3f2aaaaa, v43
	v_dual_add_f32 v41, 0xbf2aaaaa, v39 :: v_dual_sub_f32 v44, v35, v48
	s_delay_alu instid0(VALU_DEP_2) | instskip(NEXT) | instid1(VALU_DEP_2)
	v_add_f32_e32 v45, 0xbf2aaaaa, v47
	v_sub_f32_e32 v41, v38, v41
	v_add_f32_e32 v35, 0x31739010, v33
	s_delay_alu instid0(VALU_DEP_4) | instskip(NEXT) | instid1(VALU_DEP_4)
	v_add_f32_e32 v33, 0x31739010, v44
	v_sub_f32_e32 v43, v43, v45
	s_delay_alu instid0(VALU_DEP_3) | instskip(NEXT) | instid1(VALU_DEP_1)
	v_pk_mul_f32 v[44:45], v[34:35], v[40:41]
	v_fma_f32 v38, v40, v34, -v44
	s_delay_alu instid0(VALU_DEP_3) | instskip(SKIP_1) | instid1(VALU_DEP_3)
	v_pk_mul_f32 v[48:49], v[32:33], v[42:43]
	v_subrev_co_ci_u32_e64 v45, null, 0, v46, s0
	v_fmac_f32_e32 v38, v40, v60
	s_delay_alu instid0(VALU_DEP_1)
	v_fmac_f32_e32 v38, v52, v34
	v_pk_add_f32 v[50:51], v[34:35], v[40:41]
	v_fma_f32 v46, v42, v32, -v48
	v_cvt_f32_i32_e32 v35, v45
	v_pk_add_f32 v[40:41], v[32:33], v[42:43]
	v_subrev_co_ci_u32_e64 v33, null, 0, v54, vcc_lo
	s_delay_alu instid0(VALU_DEP_4) | instskip(NEXT) | instid1(VALU_DEP_3)
	v_dual_mov_b32 v45, v51 :: v_dual_fmac_f32 v46, v42, v61
	v_dual_mov_b32 v49, v41 :: v_dual_mul_f32 v40, 0x3f317218, v35
	s_delay_alu instid0(VALU_DEP_3) | instskip(NEXT) | instid1(VALU_DEP_3)
	v_cvt_f32_i32_e32 v33, v33
	v_pk_add_f32 v[42:43], v[44:45], v[38:39]
	s_delay_alu instid0(VALU_DEP_4)
	v_fmac_f32_e32 v46, v53, v32
	v_cmp_eq_f32_e32 vcc_lo, 1.0, v30
	v_fma_f32 v50, 0x3f317218, v35, -v40
	v_mul_f32_e32 v58, 0x3f317218, v33
	v_mov_b32_e32 v54, v43
	v_pk_add_f32 v[52:53], v[48:49], v[46:47]
	v_sub_f32_e32 v39, v39, v43
	v_fmac_f32_e32 v50, 0xb102e308, v35
	s_delay_alu instid0(VALU_DEP_3) | instskip(SKIP_2) | instid1(VALU_DEP_3)
	v_dual_mov_b32 v56, v53 :: v_dual_sub_f32 v45, v52, v48
	v_pk_mul_f32 v[48:49], v[42:43], v[54:55]
	v_dual_sub_f32 v47, v47, v53 :: v_dual_sub_f32 v49, v42, v44
	v_pk_mul_f32 v[54:55], v[52:53], v[56:57]
	v_add_f32_e32 v39, v51, v39
	v_ldexp_f32 v51, v32, 1
	v_fma_f32 v44, v42, v43, -v48
	s_delay_alu instid0(VALU_DEP_4) | instskip(NEXT) | instid1(VALU_DEP_3)
	v_dual_add_f32 v41, v41, v47 :: v_dual_fma_f32 v56, v52, v53, -v54
	v_dual_sub_f32 v47, v38, v49 :: v_dual_mov_b32 v55, v51
	s_delay_alu instid0(VALU_DEP_3) | instskip(SKIP_1) | instid1(VALU_DEP_4)
	v_fmac_f32_e32 v44, v42, v39
	v_sub_f32_e32 v39, v46, v45
	v_fmac_f32_e32 v56, v52, v41
	v_fma_f32 v38, 0x3f317218, v33, -v58
	s_delay_alu instid0(VALU_DEP_2) | instskip(SKIP_1) | instid1(VALU_DEP_1)
	v_fmac_f32_e32 v56, v39, v53
	v_ldexp_f32 v39, v34, 1
	v_mov_b32_e32 v49, v39
	v_fmac_f32_e32 v44, v47, v43
	s_delay_alu instid0(VALU_DEP_1) | instskip(NEXT) | instid1(VALU_DEP_1)
	v_dual_add_f32 v59, v48, v44 :: v_dual_fmac_f32 v38, 0xb102e308, v33
	v_dual_add_f32 v41, v54, v56 :: v_dual_mov_b32 v42, v59
	s_delay_alu instid0(VALU_DEP_2) | instskip(NEXT) | instid1(VALU_DEP_2)
	v_pk_add_f32 v[32:33], v[58:59], v[38:39]
	v_pk_add_f32 v[34:35], v[40:41], v[50:51]
	v_dual_mov_b32 v46, v41 :: v_dual_mov_b32 v45, v59
	v_ldexp_f32 v39, v60, 1
	s_delay_alu instid0(VALU_DEP_3) | instskip(NEXT) | instid1(VALU_DEP_4)
	v_dual_mov_b32 v43, v33 :: v_dual_mov_b32 v47, v35
	v_mov_b32_e32 v51, v34
	s_delay_alu instid0(VALU_DEP_2) | instskip(NEXT) | instid1(VALU_DEP_3)
	v_pk_add_f32 v[42:43], v[42:43], v[48:49] neg_lo:[0,1] neg_hi:[0,1]
	v_pk_add_f32 v[46:47], v[46:47], v[54:55] neg_lo:[0,1] neg_hi:[0,1]
	s_delay_alu instid0(VALU_DEP_2) | instskip(SKIP_2) | instid1(VALU_DEP_3)
	v_pk_add_f32 v[42:43], v[44:45], v[42:43] neg_lo:[0,1] neg_hi:[0,1]
	v_mov_b32_e32 v57, v41
	v_ldexp_f32 v41, v61, 1
	v_add_f32_e32 v39, v39, v42
	s_delay_alu instid0(VALU_DEP_3) | instskip(NEXT) | instid1(VALU_DEP_1)
	v_pk_add_f32 v[44:45], v[56:57], v[46:47] neg_lo:[0,1] neg_hi:[0,1]
	v_dual_add_f32 v59, v39, v43 :: v_dual_add_f32 v41, v41, v44
	s_delay_alu instid0(VALU_DEP_1) | instskip(NEXT) | instid1(VALU_DEP_2)
	v_pk_add_f32 v[42:43], v[32:33], v[58:59]
	v_add_f32_e32 v41, v41, v45
	v_pk_add_f32 v[46:47], v[32:33], v[58:59] neg_lo:[0,1] neg_hi:[0,1]
	v_dual_mov_b32 v39, v32 :: v_dual_mov_b32 v65, v32
	s_delay_alu instid0(VALU_DEP_4) | instskip(NEXT) | instid1(VALU_DEP_4)
	v_mov_b32_e32 v47, v43
	v_pk_add_f32 v[44:45], v[34:35], v[40:41]
	v_pk_add_f32 v[48:49], v[34:35], v[40:41] neg_lo:[0,1] neg_hi:[0,1]
	v_dual_mov_b32 v40, v35 :: v_dual_mov_b32 v56, v41
	s_delay_alu instid0(VALU_DEP_4) | instskip(NEXT) | instid1(VALU_DEP_4)
	v_pk_add_f32 v[52:53], v[38:39], v[46:47]
	v_dual_mov_b32 v49, v45 :: v_dual_mov_b32 v57, v34
	v_dual_mov_b32 v52, v43 :: v_dual_mov_b32 v64, v59
	s_delay_alu instid0(VALU_DEP_3) | instskip(NEXT) | instid1(VALU_DEP_3)
	v_mov_b32_e32 v58, v53
	v_pk_add_f32 v[54:55], v[50:51], v[48:49]
	v_dual_mov_b32 v60, v33 :: v_dual_mov_b32 v54, v45
	v_pk_add_f32 v[38:39], v[38:39], v[46:47] neg_lo:[0,1] neg_hi:[0,1]
	s_delay_alu instid0(VALU_DEP_4) | instskip(NEXT) | instid1(VALU_DEP_4)
	v_pk_add_f32 v[32:33], v[58:59], v[32:33] neg_lo:[0,1] neg_hi:[0,1]
	v_mov_b32_e32 v62, v55
	v_pk_add_f32 v[48:49], v[50:51], v[48:49] neg_lo:[0,1] neg_hi:[0,1]
	v_dual_mov_b32 v39, v53 :: v_dual_mov_b32 v49, v55
	s_delay_alu instid0(VALU_DEP_4) | instskip(NEXT) | instid1(VALU_DEP_4)
	v_mov_b32_e32 v61, v32
	v_pk_add_f32 v[34:35], v[62:63], v[34:35] neg_lo:[0,1] neg_hi:[0,1]
	v_mov_b32_e32 v33, v32
	s_delay_alu instid0(VALU_DEP_3) | instskip(NEXT) | instid1(VALU_DEP_3)
	v_pk_add_f32 v[46:47], v[52:53], v[60:61] neg_lo:[0,1] neg_hi:[0,1]
	v_dual_mov_b32 v41, v34 :: v_dual_mov_b32 v35, v34
	s_delay_alu instid0(VALU_DEP_3) | instskip(SKIP_1) | instid1(VALU_DEP_4)
	v_pk_add_f32 v[32:33], v[42:43], v[32:33] neg_lo:[0,1] neg_hi:[0,1]
	v_mov_b32_e32 v32, v38
	v_pk_add_f32 v[42:43], v[64:65], v[46:47] neg_lo:[0,1] neg_hi:[0,1]
	s_delay_alu instid0(VALU_DEP_4) | instskip(SKIP_1) | instid1(VALU_DEP_3)
	v_pk_add_f32 v[40:41], v[54:55], v[40:41] neg_lo:[0,1] neg_hi:[0,1]
	v_pk_add_f32 v[34:35], v[44:45], v[34:35] neg_lo:[0,1] neg_hi:[0,1]
	v_pk_add_f32 v[32:33], v[32:33], v[42:43]
	v_mov_b32_e32 v34, v48
	s_delay_alu instid0(VALU_DEP_4) | instskip(NEXT) | instid1(VALU_DEP_3)
	v_pk_add_f32 v[40:41], v[56:57], v[40:41] neg_lo:[0,1] neg_hi:[0,1]
	v_mov_b32_e32 v44, v33
	s_delay_alu instid0(VALU_DEP_2) | instskip(NEXT) | instid1(VALU_DEP_2)
	v_pk_add_f32 v[34:35], v[34:35], v[40:41]
	v_pk_add_f32 v[44:45], v[32:33], v[44:45]
	s_delay_alu instid0(VALU_DEP_2) | instskip(NEXT) | instid1(VALU_DEP_2)
	v_mov_b32_e32 v46, v35
	v_pk_add_f32 v[50:51], v[58:59], v[44:45]
	v_mov_b32_e32 v43, v44
	s_delay_alu instid0(VALU_DEP_3) | instskip(NEXT) | instid1(VALU_DEP_3)
	v_pk_add_f32 v[46:47], v[34:35], v[46:47]
	v_mov_b32_e32 v33, v50
	s_delay_alu instid0(VALU_DEP_2) | instskip(SKIP_1) | instid1(VALU_DEP_3)
	v_pk_add_f32 v[56:57], v[62:63], v[46:47]
	v_mov_b32_e32 v41, v46
	v_pk_add_f32 v[52:53], v[32:33], v[38:39] neg_lo:[0,1] neg_hi:[0,1]
	s_delay_alu instid0(VALU_DEP_3) | instskip(NEXT) | instid1(VALU_DEP_1)
	v_mov_b32_e32 v35, v56
	v_pk_add_f32 v[54:55], v[34:35], v[48:49] neg_lo:[0,1] neg_hi:[0,1]
	s_delay_alu instid0(VALU_DEP_3) | instskip(NEXT) | instid1(VALU_DEP_4)
	v_sub_f32_e32 v35, v32, v52
	v_pk_add_f32 v[32:33], v[42:43], v[52:53] neg_lo:[0,1] neg_hi:[0,1]
	s_delay_alu instid0(VALU_DEP_2) | instskip(NEXT) | instid1(VALU_DEP_1)
	v_sub_f32_e32 v38, v38, v35
	v_add_f32_e32 v32, v32, v38
	v_sub_f32_e32 v39, v34, v54
	v_pk_add_f32 v[34:35], v[40:41], v[54:55] neg_lo:[0,1] neg_hi:[0,1]
	s_delay_alu instid0(VALU_DEP_3) | instskip(NEXT) | instid1(VALU_DEP_3)
	v_add_f32_e32 v32, v32, v33
	v_sub_f32_e32 v39, v48, v39
	s_delay_alu instid0(VALU_DEP_1) | instskip(NEXT) | instid1(VALU_DEP_1)
	v_add_f32_e32 v34, v34, v39
	v_add_f32_e32 v33, v34, v35
	s_delay_alu instid0(VALU_DEP_4) | instskip(SKIP_2) | instid1(VALU_DEP_3)
	v_add_f32_e32 v34, v50, v32
	v_cndmask_b32_e64 v35, 2.0, 1.0, vcc_lo
	v_cmp_eq_f32_e32 vcc_lo, 1.0, v37
	v_sub_f32_e32 v40, v34, v50
	s_delay_alu instid0(VALU_DEP_3) | instskip(SKIP_3) | instid1(VALU_DEP_4)
	v_dual_mul_f32 v41, v35, v34 :: v_dual_add_f32 v38, v56, v33
	v_cndmask_b32_e64 v39, 2.0, 1.0, vcc_lo
	v_mul_f32_e32 v53, 0.5, v35
	v_trunc_f32_e32 v51, v35
	v_dual_fma_f32 v34, v35, v34, -v41 :: v_dual_sub_f32 v42, v38, v56
	s_delay_alu instid0(VALU_DEP_4) | instskip(SKIP_1) | instid1(VALU_DEP_3)
	v_dual_mul_f32 v43, v39, v38 :: v_dual_sub_f32 v32, v32, v40
	v_cmp_class_f32_e64 vcc_lo, v41, 0x204
	v_dual_mul_f32 v47, 0.5, v39 :: v_dual_sub_f32 v33, v33, v42
	v_trunc_f32_e32 v45, v39
	s_delay_alu instid0(VALU_DEP_4) | instskip(SKIP_2) | instid1(VALU_DEP_4)
	v_fmac_f32_e32 v34, v35, v32
	v_cmp_eq_f32_e64 s1, v51, v35
	v_trunc_f32_e32 v56, v53
	v_cmp_eq_f32_e64 s0, v45, v39
	s_delay_alu instid0(VALU_DEP_4) | instskip(SKIP_1) | instid1(VALU_DEP_4)
	v_add_f32_e32 v32, v41, v34
	v_fma_f32 v38, v39, v38, -v43
	v_cmp_neq_f32_e64 s2, v56, v53
	v_trunc_f32_e32 v45, v47
	s_delay_alu instid0(VALU_DEP_4) | instskip(NEXT) | instid1(VALU_DEP_4)
	v_cndmask_b32_e32 v40, v32, v41, vcc_lo
	v_fmac_f32_e32 v38, v39, v33
	v_cmp_class_f32_e64 vcc_lo, v43, 0x204
	s_and_b32 s2, s1, s2
	v_cmp_neq_f32_e64 s3, 0x7f800000, |v40|
	v_add_f32_e32 v33, v43, v38
	s_delay_alu instid0(VALU_DEP_1) | instskip(SKIP_2) | instid1(VALU_DEP_3)
	v_cndmask_b32_e32 v42, v33, v43, vcc_lo
	v_cmp_eq_f32_e32 vcc_lo, 0x42b17218, v40
	v_cndmask_b32_e64 v44, 0, 0x37000000, vcc_lo
	v_cmp_eq_f32_e32 vcc_lo, 0x42b17218, v42
	s_delay_alu instid0(VALU_DEP_2) | instskip(SKIP_3) | instid1(VALU_DEP_3)
	v_sub_f32_e32 v48, v40, v44
	v_cndmask_b32_e64 v46, 0, 0x37000000, vcc_lo
	v_dual_sub_f32 v33, v33, v43 :: v_dual_sub_f32 v32, v32, v41
	v_cmp_eq_f32_e32 vcc_lo, 0, v37
	v_dual_mul_f32 v39, 0x3fb8aa3b, v48 :: v_dual_sub_f32 v50, v42, v46
	s_delay_alu instid0(VALU_DEP_3) | instskip(NEXT) | instid1(VALU_DEP_4)
	v_sub_f32_e32 v33, v38, v33
	v_sub_f32_e32 v32, v34, v32
	v_cndmask_b32_e64 v49, 0x7f800000, 0, vcc_lo
	s_delay_alu instid0(VALU_DEP_4) | instskip(SKIP_3) | instid1(VALU_DEP_2)
	v_fma_f32 v54, 0x3fb8aa3b, v48, -v39
	v_rndne_f32_e32 v55, v39
	v_mul_f32_e32 v52, 0x3fb8aa3b, v50
	s_or_b32 vcc_lo, vcc_lo, s15
	v_sub_f32_e32 v39, v39, v55
	s_delay_alu instid0(VALU_DEP_2) | instskip(SKIP_3) | instid1(VALU_DEP_3)
	v_fma_f32 v35, 0x3fb8aa3b, v50, -v52
	v_rndne_f32_e32 v51, v52
	v_fmac_f32_e32 v54, 0x32a5705f, v48
	v_cvt_i32_f32_e32 v34, v55
	v_dual_fmac_f32 v35, 0x32a5705f, v50 :: v_dual_sub_f32 v52, v52, v51
	s_delay_alu instid0(VALU_DEP_1) | instskip(NEXT) | instid1(VALU_DEP_1)
	v_dual_add_f32 v39, v39, v54 :: v_dual_add_f32 v35, v52, v35
	v_exp_f32_e32 v38, v39
	v_nop
	v_cvt_i32_f32_e32 v39, v51
	s_delay_alu instid0(VALU_DEP_3) | instskip(NEXT) | instid1(TRANS32_DEP_2)
	v_exp_f32_e32 v35, v35
	v_ldexp_f32 v34, v38, v34
	v_cndmask_b32_e64 v32, 0, v32, s3
	v_cmp_neq_f32_e64 s3, 0x7f800000, |v42|
	v_cndmask_b32_e64 v38, 1.0, v30, s2
	s_delay_alu instid0(TRANS32_DEP_1) | instskip(NEXT) | instid1(VALU_DEP_3)
	v_ldexp_f32 v35, v35, v39
	v_cndmask_b32_e64 v33, 0, v33, s3
	v_cmp_ngt_f32_e64 s3, 0xc2ce8ed0, v48
	s_delay_alu instid0(VALU_DEP_1) | instskip(SKIP_1) | instid1(VALU_DEP_1)
	v_dual_add_f32 v33, v46, v33 :: v_dual_cndmask_b32 v34, 0, v34, s3
	v_cmp_ngt_f32_e64 s3, 0xc2ce8ed0, v50
	v_dual_add_f32 v32, v44, v32 :: v_dual_cndmask_b32 v35, 0, v35, s3
	v_cmp_nlt_f32_e64 s3, 0x42b17218, v48
	s_delay_alu instid0(VALU_DEP_1) | instskip(SKIP_1) | instid1(VALU_DEP_2)
	v_cndmask_b32_e64 v34, 0x7f800000, v34, s3
	v_cmp_nlt_f32_e64 s3, 0x42b17218, v50
	v_cmp_class_f32_e64 s4, v34, 0x204
	s_delay_alu instid0(VALU_DEP_2) | instskip(SKIP_1) | instid1(VALU_DEP_2)
	v_cndmask_b32_e64 v35, 0x7f800000, v35, s3
	v_cmp_neq_f32_e64 s3, v45, v47
	v_dual_fma_f32 v32, v34, v32, v34 :: v_dual_fma_f32 v33, v35, v33, v35
	s_and_b32 s3, s0, s3
	s_delay_alu instid0(VALU_DEP_1) | instid1(SALU_CYCLE_1)
	v_dual_cndmask_b32 v32, v32, v34, s4 :: v_dual_cndmask_b32 v34, 1.0, v37, s3
	v_cmp_class_f32_e64 s4, v35, 0x204
	s_delay_alu instid0(VALU_DEP_2) | instskip(NEXT) | instid1(VALU_DEP_2)
	v_bfi_b32 v32, 0x7fffffff, v32, v38
	v_dual_cndmask_b32 v38, 0, v30, s2 :: v_dual_cndmask_b32 v33, v33, v35, s4
	v_cmp_eq_f32_e64 s4, 0, v30
	v_cmp_class_f32_e64 s2, v30, 0x204
	s_delay_alu instid0(VALU_DEP_3) | instskip(NEXT) | instid1(VALU_DEP_3)
	v_bfi_b32 v33, 0x7fffffff, v33, v34
	v_cndmask_b32_e64 v35, 0x7f800000, 0, s4
	v_cndmask_b32_e64 v34, 0x7fc00000, v32, s1
	s_delay_alu instid0(VALU_DEP_2) | instskip(NEXT) | instid1(VALU_DEP_4)
	v_bfi_b32 v35, 0x7fffffff, v35, v38
	v_cndmask_b32_e64 v38, 0x7fc00000, v33, s0
	v_cmp_gt_f32_e64 s0, 0, v30
	s_delay_alu instid0(VALU_DEP_1) | instskip(SKIP_1) | instid1(VALU_DEP_2)
	v_dual_cndmask_b32 v39, 0, v37, s3 :: v_dual_cndmask_b32 v32, v32, v34, s0
	v_cmp_gt_f32_e64 s0, 0, v37
	v_bfi_b32 v34, 0x7fffffff, v49, v39
	s_delay_alu instid0(VALU_DEP_2) | instskip(SKIP_2) | instid1(VALU_DEP_1)
	v_cndmask_b32_e64 v33, v33, v38, s0
	s_or_b32 s0, s4, s2
	s_cmp_lg_u32 s10, 30
	v_dual_cndmask_b32 v32, v32, v35, s0 :: v_dual_cndmask_b32 v33, v33, v34, vcc_lo
	v_cmp_o_f32_e32 vcc_lo, v37, v37
	s_delay_alu instid0(VALU_DEP_2) | instskip(NEXT) | instid1(VALU_DEP_3)
	v_fma_f32 v32, 0x41200000, v32, 1.0
	v_cndmask_b32_e32 v33, 0x7fc00000, v33, vcc_lo
	v_cmp_o_f32_e32 vcc_lo, v30, v30
	s_delay_alu instid0(VALU_DEP_3) | instskip(NEXT) | instid1(VALU_DEP_1)
	v_cndmask_b32_e32 v30, 0x7fc00000, v32, vcc_lo
	v_fmac_f32_e32 v36, v33, v30
	s_cbranch_scc0 .LBB1_33
.LBB1_29:                               ; =>This Inner Loop Header: Depth=1
	s_mov_b32 m0, s10
                                        ; implicit-def: $vgpr34
	s_mov_b32 s1, exec_lo
	v_movrels_b32_e32 v30, v0
	s_delay_alu instid0(VALU_DEP_1) | instskip(NEXT) | instid1(VALU_DEP_1)
	v_add_f32_e32 v30, -1.0, v30
	v_fma_f32 v30, 0x3e800000, v30, 1.0
	s_delay_alu instid0(VALU_DEP_1) | instskip(NEXT) | instid1(VALU_DEP_1)
	v_mul_f32_e32 v32, 0x40490e56, v30
                                        ; implicit-def: $vgpr30
	v_and_b32_e32 v33, 0x7fffffff, v32
	v_cmpx_ngt_f32_e64 0x48000000, |v32|
	s_xor_b32 s2, exec_lo, s1
	s_cbranch_execz .LBB1_31
; %bb.30:                               ;   in Loop: Header=BB1_29 Depth=1
	s_delay_alu instid0(VALU_DEP_2) | instskip(SKIP_1) | instid1(VALU_DEP_2)
	v_and_or_b32 v30, v33, s14, 0x800000
	v_dual_mov_b32 v47, v31 :: v_dual_mov_b32 v49, v31
	v_mul_u64_e32 v[34:35], s[8:9], v[30:31]
	s_delay_alu instid0(VALU_DEP_1) | instskip(SKIP_1) | instid1(VALU_DEP_2)
	v_dual_mov_b32 v39, v31 :: v_dual_mov_b32 v38, v35
	v_lshrrev_b32_e32 v35, 23, v33
	v_mad_nc_u64_u32 v[38:39], 0x3c439041, v30, v[38:39]
	v_mov_b32_e32 v41, v31
	s_delay_alu instid0(VALU_DEP_3) | instskip(NEXT) | instid1(VALU_DEP_1)
	v_add_nc_u32_e32 v35, 0xffffff88, v35
	v_cmp_lt_u32_e32 vcc_lo, 63, v35
	s_delay_alu instid0(VALU_DEP_4) | instskip(SKIP_1) | instid1(VALU_DEP_2)
	v_mov_b32_e32 v40, v39
	v_cndmask_b32_e64 v37, 0, 0xffffffc0, vcc_lo
	v_mad_nc_u64_u32 v[40:41], 0xdb629599, v30, v[40:41]
	s_delay_alu instid0(VALU_DEP_2) | instskip(NEXT) | instid1(VALU_DEP_1)
	v_dual_mov_b32 v43, v31 :: v_dual_add_nc_u32 v35, v37, v35
	v_cmp_lt_u32_e64 s0, 31, v35
	s_delay_alu instid0(VALU_DEP_3) | instskip(NEXT) | instid1(VALU_DEP_2)
	v_dual_mov_b32 v42, v41 :: v_dual_cndmask_b32 v34, v40, v34, vcc_lo
	v_cndmask_b32_e64 v37, 0, 0xffffffe0, s0
	s_delay_alu instid0(VALU_DEP_2) | instskip(NEXT) | instid1(VALU_DEP_1)
	v_mad_nc_u64_u32 v[42:43], 0xf534ddc0, v30, v[42:43]
	v_dual_mov_b32 v45, v31 :: v_dual_mov_b32 v44, v43
	s_delay_alu instid0(VALU_DEP_1) | instskip(NEXT) | instid1(VALU_DEP_1)
	v_mad_nc_u64_u32 v[44:45], 0xfc2757d1, v30, v[44:45]
	v_dual_mov_b32 v46, v45 :: v_dual_cndmask_b32 v43, v44, v40
	s_delay_alu instid0(VALU_DEP_1) | instskip(NEXT) | instid1(VALU_DEP_1)
	v_mad_nc_u64_u32 v[46:47], 0x4e441529, v30, v[46:47]
	v_mov_b32_e32 v48, v47
	s_delay_alu instid0(VALU_DEP_1) | instskip(NEXT) | instid1(VALU_DEP_3)
	v_mad_nc_u64_u32 v[48:49], 0xa2f9836e, v30, v[48:49]
	v_dual_cndmask_b32 v37, v46, v42 :: v_dual_add_nc_u32 v30, v37, v35
	s_delay_alu instid0(VALU_DEP_1) | instskip(NEXT) | instid1(VALU_DEP_1)
	v_cmp_lt_u32_e64 s1, 31, v30
	v_cndmask_b32_e64 v35, 0, 0xffffffe0, s1
	s_delay_alu instid0(VALU_DEP_4) | instskip(NEXT) | instid1(VALU_DEP_2)
	v_dual_cndmask_b32 v39, v48, v44, vcc_lo :: v_dual_cndmask_b32 v41, v49, v46, vcc_lo
	v_add_nc_u32_e32 v30, v35, v30
	s_delay_alu instid0(VALU_DEP_2) | instskip(NEXT) | instid1(VALU_DEP_3)
	v_dual_cndmask_b32 v35, v42, v38, vcc_lo :: v_dual_cndmask_b32 v38, v39, v37, s0
	v_cndmask_b32_e64 v39, v41, v39, s0
	s_delay_alu instid0(VALU_DEP_3) | instskip(NEXT) | instid1(VALU_DEP_3)
	v_dual_cndmask_b32 v37, v37, v43, s0 :: v_dual_sub_nc_u32 v41, 32, v30
	v_cndmask_b32_e64 v42, v43, v35, s0
	v_cmp_eq_u32_e32 vcc_lo, 0, v30
	s_delay_alu instid0(VALU_DEP_3) | instskip(NEXT) | instid1(VALU_DEP_3)
	v_dual_cndmask_b32 v39, v39, v38, s1 :: v_dual_cndmask_b32 v38, v38, v37, s1
	v_cndmask_b32_e64 v37, v37, v42, s1
	v_cndmask_b32_e64 v34, v35, v34, s0
	s_delay_alu instid0(VALU_DEP_2) | instskip(NEXT) | instid1(VALU_DEP_1)
	v_alignbit_b32 v40, v38, v37, v41
	v_cndmask_b32_e32 v35, v40, v38, vcc_lo
	v_alignbit_b32 v43, v39, v38, v41
	s_delay_alu instid0(VALU_DEP_1) | instskip(NEXT) | instid1(VALU_DEP_1)
	v_cndmask_b32_e32 v30, v43, v39, vcc_lo
	v_bfe_u32 v38, v30, 29, 1
	s_delay_alu instid0(VALU_DEP_4) | instskip(NEXT) | instid1(VALU_DEP_2)
	v_alignbit_b32 v39, v30, v35, 30
	v_sub_nc_u32_e32 v40, 0, v38
	s_delay_alu instid0(VALU_DEP_1) | instskip(NEXT) | instid1(VALU_DEP_1)
	v_dual_cndmask_b32 v34, v42, v34, s1 :: v_dual_bitop2_b32 v39, v39, v40 bitop3:0x14
	v_alignbit_b32 v41, v37, v34, v41
	s_delay_alu instid0(VALU_DEP_1) | instskip(NEXT) | instid1(VALU_DEP_3)
	v_cndmask_b32_e32 v37, v41, v37, vcc_lo
	v_clz_i32_u32_e32 v41, v39
	s_delay_alu instid0(VALU_DEP_2) | instskip(NEXT) | instid1(VALU_DEP_2)
	v_alignbit_b32 v35, v35, v37, 30
	v_min_u32_e32 v41, 32, v41
	s_delay_alu instid0(VALU_DEP_2) | instskip(SKIP_1) | instid1(VALU_DEP_3)
	v_xor_b32_e32 v35, v35, v40
	v_alignbit_b32 v34, v37, v34, 30
	v_dual_sub_nc_u32 v37, 31, v41 :: v_dual_lshlrev_b32 v42, 23, v41
	s_delay_alu instid0(VALU_DEP_2) | instskip(NEXT) | instid1(VALU_DEP_2)
	v_dual_lshrrev_b32 v40, 29, v30 :: v_dual_bitop2_b32 v34, v34, v40 bitop3:0x14
	v_alignbit_b32 v39, v39, v35, v37
	s_delay_alu instid0(VALU_DEP_2) | instskip(NEXT) | instid1(VALU_DEP_3)
	v_alignbit_b32 v34, v35, v34, v37
	v_lshlrev_b32_e32 v35, 31, v40
	s_delay_alu instid0(VALU_DEP_2) | instskip(NEXT) | instid1(VALU_DEP_2)
	v_alignbit_b32 v37, v39, v34, 9
	v_or_b32_e32 v40, 0.5, v35
	v_or_b32_e32 v35, 0x33000000, v35
	v_lshrrev_b32_e32 v39, 9, v39
	s_delay_alu instid0(VALU_DEP_4) | instskip(NEXT) | instid1(VALU_DEP_4)
	v_clz_i32_u32_e32 v43, v37
	v_sub_nc_u32_e32 v40, v40, v42
	s_delay_alu instid0(VALU_DEP_2) | instskip(NEXT) | instid1(VALU_DEP_2)
	v_min_u32_e32 v42, 32, v43
	v_or_b32_e32 v39, v39, v40
	s_delay_alu instid0(VALU_DEP_2) | instskip(SKIP_1) | instid1(VALU_DEP_2)
	v_not_b32_e32 v40, v42
	v_add_lshl_u32 v41, v42, v41, 23
	v_alignbit_b32 v34, v37, v34, v40
	s_delay_alu instid0(VALU_DEP_1) | instskip(SKIP_1) | instid1(VALU_DEP_2)
	v_dual_sub_nc_u32 v35, v35, v41 :: v_dual_lshrrev_b32 v34, 9, v34
	v_mul_f32_e32 v43, 0x3fc90fda, v39
	v_or_b32_e32 v34, v35, v34
	s_delay_alu instid0(VALU_DEP_2) | instskip(NEXT) | instid1(VALU_DEP_1)
	v_fma_f32 v37, 0x3fc90fda, v39, -v43
	v_fmac_f32_e32 v37, 0x33a22168, v39
	s_delay_alu instid0(VALU_DEP_1) | instskip(NEXT) | instid1(VALU_DEP_1)
	v_fmac_f32_e32 v37, 0x3fc90fda, v34
	v_dual_lshrrev_b32 v34, 30, v30 :: v_dual_add_f32 v30, v43, v37
	s_delay_alu instid0(VALU_DEP_1)
	v_add_nc_u32_e32 v34, v38, v34
.LBB1_31:                               ;   in Loop: Header=BB1_29 Depth=1
	s_and_not1_saveexec_b32 s0, s2
	s_cbranch_execz .LBB1_28
; %bb.32:                               ;   in Loop: Header=BB1_29 Depth=1
	v_mul_f32_e64 v30, 0x3f22f983, |v32|
	s_delay_alu instid0(VALU_DEP_1) | instskip(NEXT) | instid1(VALU_DEP_1)
	v_rndne_f32_e32 v34, v30
	v_fma_f32 v30, 0xbfc90fda, v34, |v32|
	s_delay_alu instid0(VALU_DEP_1) | instskip(NEXT) | instid1(VALU_DEP_1)
	v_fmac_f32_e32 v30, 0xb3a22168, v34
	v_fmac_f32_e32 v30, 0xa7c234c4, v34
	v_cvt_i32_f32_e32 v34, v34
	s_branch .LBB1_28
.LBB1_33:
	s_delay_alu instid0(VALU_DEP_1)
	v_cmp_gt_f32_e32 vcc_lo, 0x43020000, v36
	s_and_b32 exec_lo, exec_lo, vcc_lo
	s_cbranch_execz .LBB1_154
; %bb.34:
	s_mov_b32 s1, exec_lo
	s_brev_b32 s0, 1
.LBB1_35:                               ; =>This Inner Loop Header: Depth=1
	s_ctz_i32_b32 s2, s1
	s_delay_alu instid0(SALU_CYCLE_1) | instskip(SKIP_1) | instid1(SALU_CYCLE_1)
	v_readlane_b32 s3, v0, s2
	s_lshl_b32 s2, 1, s2
	s_and_not1_b32 s1, s1, s2
	s_delay_alu instid0(SALU_CYCLE_1)
	s_cmp_lg_u32 s1, 0
	s_add_f32 s0, s0, s3
	s_cbranch_scc1 .LBB1_35
; %bb.36:
	v_mbcnt_lo_u32_b32 v0, exec_lo, 0
	s_mov_b32 s1, exec_lo
	s_delay_alu instid0(VALU_DEP_1)
	v_cmpx_eq_u32_e32 0, v0
	s_xor_b32 s1, exec_lo, s1
	s_cbranch_execz .LBB1_38
; %bb.37:
	v_dual_mov_b32 v0, 0 :: v_dual_mov_b32 v30, s0
	s_wait_kmcnt 0x0
	global_atomic_add_f32 v0, v30, s[6:7] scope:SCOPE_DEV
.LBB1_38:
	s_wait_xcnt 0x0
	s_or_b32 exec_lo, exec_lo, s1
	s_delay_alu instid0(SALU_CYCLE_1)
	s_mov_b32 s1, exec_lo
	s_brev_b32 s0, 1
.LBB1_39:                               ; =>This Inner Loop Header: Depth=1
	s_ctz_i32_b32 s2, s1
	s_delay_alu instid0(SALU_CYCLE_1) | instskip(SKIP_1) | instid1(SALU_CYCLE_1)
	v_readlane_b32 s3, v1, s2
	s_lshl_b32 s2, 1, s2
	s_and_not1_b32 s1, s1, s2
	s_delay_alu instid0(SALU_CYCLE_1)
	s_cmp_lg_u32 s1, 0
	s_add_f32 s0, s0, s3
	s_cbranch_scc1 .LBB1_39
; %bb.40:
	v_mbcnt_lo_u32_b32 v0, exec_lo, 0
	s_mov_b32 s1, exec_lo
	s_delay_alu instid0(VALU_DEP_1)
	v_cmpx_eq_u32_e32 0, v0
	s_xor_b32 s1, exec_lo, s1
	s_cbranch_execz .LBB1_42
; %bb.41:
	v_dual_mov_b32 v0, 0 :: v_dual_mov_b32 v1, s0
	s_wait_kmcnt 0x0
	global_atomic_add_f32 v0, v1, s[6:7] offset:4 scope:SCOPE_DEV
.LBB1_42:
	s_wait_xcnt 0x0
	s_or_b32 exec_lo, exec_lo, s1
	s_delay_alu instid0(SALU_CYCLE_1)
	s_mov_b32 s1, exec_lo
	s_brev_b32 s0, 1
.LBB1_43:                               ; =>This Inner Loop Header: Depth=1
	s_ctz_i32_b32 s2, s1
	s_delay_alu instid0(SALU_CYCLE_1) | instskip(SKIP_1) | instid1(SALU_CYCLE_1)
	v_readlane_b32 s3, v2, s2
	s_lshl_b32 s2, 1, s2
	s_and_not1_b32 s1, s1, s2
	s_delay_alu instid0(SALU_CYCLE_1)
	s_cmp_lg_u32 s1, 0
	s_add_f32 s0, s0, s3
	s_cbranch_scc1 .LBB1_43
; %bb.44:
	v_mbcnt_lo_u32_b32 v0, exec_lo, 0
	s_mov_b32 s1, exec_lo
	s_delay_alu instid0(VALU_DEP_1)
	v_cmpx_eq_u32_e32 0, v0
	s_xor_b32 s1, exec_lo, s1
	s_cbranch_execz .LBB1_46
; %bb.45:
	v_dual_mov_b32 v0, 0 :: v_dual_mov_b32 v1, s0
	s_wait_kmcnt 0x0
	global_atomic_add_f32 v0, v1, s[6:7] offset:8 scope:SCOPE_DEV
.LBB1_46:
	;; [unrolled: 27-line block ×16, first 2 shown]
	s_wait_xcnt 0x0
	s_or_b32 exec_lo, exec_lo, s1
	s_delay_alu instid0(SALU_CYCLE_1)
	s_mov_b32 s1, exec_lo
	s_brev_b32 s0, 1
.LBB1_103:                              ; =>This Inner Loop Header: Depth=1
	s_ctz_i32_b32 s2, s1
	s_delay_alu instid0(SALU_CYCLE_1) | instskip(SKIP_1) | instid1(SALU_CYCLE_1)
	v_readlane_b32 s3, v17, s2
	s_lshl_b32 s2, 1, s2
	s_and_not1_b32 s1, s1, s2
	s_delay_alu instid0(SALU_CYCLE_1)
	s_cmp_lg_u32 s1, 0
	s_add_f32 s0, s0, s3
	s_cbranch_scc1 .LBB1_103
; %bb.104:
	v_mbcnt_lo_u32_b32 v0, exec_lo, 0
	s_mov_b32 s1, exec_lo
	s_delay_alu instid0(VALU_DEP_1)
	v_cmpx_eq_u32_e32 0, v0
	s_xor_b32 s1, exec_lo, s1
	s_cbranch_execz .LBB1_106
; %bb.105:
	v_dual_mov_b32 v0, 0 :: v_dual_mov_b32 v1, s0
	s_wait_kmcnt 0x0
	global_atomic_add_f32 v0, v1, s[6:7] offset:68 scope:SCOPE_DEV
.LBB1_106:
	s_wait_xcnt 0x0
	s_or_b32 exec_lo, exec_lo, s1
	s_delay_alu instid0(SALU_CYCLE_1)
	s_mov_b32 s1, exec_lo
	s_brev_b32 s0, 1
.LBB1_107:                              ; =>This Inner Loop Header: Depth=1
	s_ctz_i32_b32 s2, s1
	s_delay_alu instid0(SALU_CYCLE_1) | instskip(SKIP_1) | instid1(SALU_CYCLE_1)
	v_readlane_b32 s3, v18, s2
	s_lshl_b32 s2, 1, s2
	s_and_not1_b32 s1, s1, s2
	s_delay_alu instid0(SALU_CYCLE_1)
	s_cmp_lg_u32 s1, 0
	s_add_f32 s0, s0, s3
	s_cbranch_scc1 .LBB1_107
; %bb.108:
	v_mbcnt_lo_u32_b32 v0, exec_lo, 0
	s_mov_b32 s1, exec_lo
	s_delay_alu instid0(VALU_DEP_1)
	v_cmpx_eq_u32_e32 0, v0
	s_xor_b32 s1, exec_lo, s1
	s_cbranch_execz .LBB1_110
; %bb.109:
	v_dual_mov_b32 v0, 0 :: v_dual_mov_b32 v1, s0
	s_wait_kmcnt 0x0
	global_atomic_add_f32 v0, v1, s[6:7] offset:72 scope:SCOPE_DEV
.LBB1_110:
	s_wait_xcnt 0x0
	s_or_b32 exec_lo, exec_lo, s1
	s_delay_alu instid0(SALU_CYCLE_1)
	s_mov_b32 s1, exec_lo
	s_brev_b32 s0, 1
.LBB1_111:                              ; =>This Inner Loop Header: Depth=1
	s_ctz_i32_b32 s2, s1
	s_delay_alu instid0(SALU_CYCLE_1) | instskip(SKIP_1) | instid1(SALU_CYCLE_1)
	v_readlane_b32 s3, v19, s2
	s_lshl_b32 s2, 1, s2
	s_and_not1_b32 s1, s1, s2
	s_delay_alu instid0(SALU_CYCLE_1)
	s_cmp_lg_u32 s1, 0
	s_add_f32 s0, s0, s3
	s_cbranch_scc1 .LBB1_111
; %bb.112:
	v_mbcnt_lo_u32_b32 v0, exec_lo, 0
	s_mov_b32 s1, exec_lo
	s_delay_alu instid0(VALU_DEP_1)
	v_cmpx_eq_u32_e32 0, v0
	s_xor_b32 s1, exec_lo, s1
	s_cbranch_execz .LBB1_114
; %bb.113:
	v_dual_mov_b32 v0, 0 :: v_dual_mov_b32 v1, s0
	s_wait_kmcnt 0x0
	global_atomic_add_f32 v0, v1, s[6:7] offset:76 scope:SCOPE_DEV
.LBB1_114:
	s_wait_xcnt 0x0
	s_or_b32 exec_lo, exec_lo, s1
	s_delay_alu instid0(SALU_CYCLE_1)
	s_mov_b32 s1, exec_lo
	s_brev_b32 s0, 1
.LBB1_115:                              ; =>This Inner Loop Header: Depth=1
	s_ctz_i32_b32 s2, s1
	s_delay_alu instid0(SALU_CYCLE_1) | instskip(SKIP_1) | instid1(SALU_CYCLE_1)
	v_readlane_b32 s3, v20, s2
	s_lshl_b32 s2, 1, s2
	s_and_not1_b32 s1, s1, s2
	s_delay_alu instid0(SALU_CYCLE_1)
	s_cmp_lg_u32 s1, 0
	s_add_f32 s0, s0, s3
	s_cbranch_scc1 .LBB1_115
; %bb.116:
	v_mbcnt_lo_u32_b32 v0, exec_lo, 0
	s_mov_b32 s1, exec_lo
	s_delay_alu instid0(VALU_DEP_1)
	v_cmpx_eq_u32_e32 0, v0
	s_xor_b32 s1, exec_lo, s1
	s_cbranch_execz .LBB1_118
; %bb.117:
	v_dual_mov_b32 v0, 0 :: v_dual_mov_b32 v1, s0
	s_wait_kmcnt 0x0
	global_atomic_add_f32 v0, v1, s[6:7] offset:80 scope:SCOPE_DEV
.LBB1_118:
	;; [unrolled: 54-line block ×6, first 2 shown]
	s_wait_xcnt 0x0
	s_or_b32 exec_lo, exec_lo, s1
	s_delay_alu instid0(SALU_CYCLE_1)
	s_mov_b32 s1, exec_lo
	s_brev_b32 s0, 1
.LBB1_151:                              ; =>This Inner Loop Header: Depth=1
	s_ctz_i32_b32 s2, s1
	s_delay_alu instid0(SALU_CYCLE_1) | instskip(SKIP_1) | instid1(SALU_CYCLE_1)
	v_readlane_b32 s3, v29, s2
	s_lshl_b32 s2, 1, s2
	s_and_not1_b32 s1, s1, s2
	s_delay_alu instid0(SALU_CYCLE_1)
	s_cmp_lg_u32 s1, 0
	s_add_f32 s0, s0, s3
	s_cbranch_scc1 .LBB1_151
; %bb.152:
	v_mbcnt_lo_u32_b32 v0, exec_lo, 0
	s_mov_b32 s1, exec_lo
	s_delay_alu instid0(VALU_DEP_1)
	v_cmpx_eq_u32_e32 0, v0
	s_xor_b32 s1, exec_lo, s1
	s_cbranch_execz .LBB1_154
; %bb.153:
	v_dual_mov_b32 v0, 0 :: v_dual_mov_b32 v1, s0
	s_wait_kmcnt 0x0
	global_atomic_add_f32 v0, v1, s[6:7] offset:116 scope:SCOPE_DEV
.LBB1_154:
	s_sendmsg sendmsg(MSG_DEALLOC_VGPRS)
	s_endpgm
	.section	.rodata,"a",@progbits
	.p2align	6, 0x0
	.amdhsa_kernel _Z17kernelUpdatePBestPKfPfS1_i
		.amdhsa_group_segment_fixed_size 0
		.amdhsa_private_segment_fixed_size 0
		.amdhsa_kernarg_size 288
		.amdhsa_user_sgpr_count 2
		.amdhsa_user_sgpr_dispatch_ptr 0
		.amdhsa_user_sgpr_queue_ptr 0
		.amdhsa_user_sgpr_kernarg_segment_ptr 1
		.amdhsa_user_sgpr_dispatch_id 0
		.amdhsa_user_sgpr_kernarg_preload_length 0
		.amdhsa_user_sgpr_kernarg_preload_offset 0
		.amdhsa_user_sgpr_private_segment_size 0
		.amdhsa_wavefront_size32 1
		.amdhsa_uses_dynamic_stack 0
		.amdhsa_enable_private_segment 0
		.amdhsa_system_sgpr_workgroup_id_x 1
		.amdhsa_system_sgpr_workgroup_id_y 0
		.amdhsa_system_sgpr_workgroup_id_z 0
		.amdhsa_system_sgpr_workgroup_info 0
		.amdhsa_system_vgpr_workitem_id 0
		.amdhsa_next_free_vgpr 102
		.amdhsa_next_free_sgpr 18
		.amdhsa_named_barrier_count 0
		.amdhsa_reserve_vcc 1
		.amdhsa_float_round_mode_32 0
		.amdhsa_float_round_mode_16_64 0
		.amdhsa_float_denorm_mode_32 3
		.amdhsa_float_denorm_mode_16_64 3
		.amdhsa_fp16_overflow 0
		.amdhsa_memory_ordered 1
		.amdhsa_forward_progress 1
		.amdhsa_inst_pref_size 188
		.amdhsa_round_robin_scheduling 0
		.amdhsa_exception_fp_ieee_invalid_op 0
		.amdhsa_exception_fp_denorm_src 0
		.amdhsa_exception_fp_ieee_div_zero 0
		.amdhsa_exception_fp_ieee_overflow 0
		.amdhsa_exception_fp_ieee_underflow 0
		.amdhsa_exception_fp_ieee_inexact 0
		.amdhsa_exception_int_div_zero 0
	.end_amdhsa_kernel
	.text
.Lfunc_end1:
	.size	_Z17kernelUpdatePBestPKfPfS1_i, .Lfunc_end1-_Z17kernelUpdatePBestPKfPfS1_i
                                        ; -- End function
	.set _Z17kernelUpdatePBestPKfPfS1_i.num_vgpr, 102
	.set _Z17kernelUpdatePBestPKfPfS1_i.num_agpr, 0
	.set _Z17kernelUpdatePBestPKfPfS1_i.numbered_sgpr, 18
	.set _Z17kernelUpdatePBestPKfPfS1_i.num_named_barrier, 0
	.set _Z17kernelUpdatePBestPKfPfS1_i.private_seg_size, 0
	.set _Z17kernelUpdatePBestPKfPfS1_i.uses_vcc, 1
	.set _Z17kernelUpdatePBestPKfPfS1_i.uses_flat_scratch, 0
	.set _Z17kernelUpdatePBestPKfPfS1_i.has_dyn_sized_stack, 0
	.set _Z17kernelUpdatePBestPKfPfS1_i.has_recursion, 0
	.set _Z17kernelUpdatePBestPKfPfS1_i.has_indirect_call, 0
	.section	.AMDGPU.csdata,"",@progbits
; Kernel info:
; codeLenInByte = 23960
; TotalNumSgprs: 20
; NumVgprs: 102
; ScratchSize: 0
; MemoryBound: 1
; FloatMode: 240
; IeeeMode: 1
; LDSByteSize: 0 bytes/workgroup (compile time only)
; SGPRBlocks: 0
; VGPRBlocks: 6
; NumSGPRsForWavesPerEU: 20
; NumVGPRsForWavesPerEU: 102
; NamedBarCnt: 0
; Occupancy: 9
; WaveLimiterHint : 0
; COMPUTE_PGM_RSRC2:SCRATCH_EN: 0
; COMPUTE_PGM_RSRC2:USER_SGPR: 2
; COMPUTE_PGM_RSRC2:TRAP_HANDLER: 0
; COMPUTE_PGM_RSRC2:TGID_X_EN: 1
; COMPUTE_PGM_RSRC2:TGID_Y_EN: 0
; COMPUTE_PGM_RSRC2:TGID_Z_EN: 0
; COMPUTE_PGM_RSRC2:TIDIG_COMP_CNT: 0
	.text
	.p2alignl 7, 3214868480
	.fill 96, 4, 3214868480
	.section	.AMDGPU.gpr_maximums,"",@progbits
	.set amdgpu.max_num_vgpr, 0
	.set amdgpu.max_num_agpr, 0
	.set amdgpu.max_num_sgpr, 0
	.text
	.type	__hip_cuid_c3570cee55082578,@object ; @__hip_cuid_c3570cee55082578
	.section	.bss,"aw",@nobits
	.globl	__hip_cuid_c3570cee55082578
__hip_cuid_c3570cee55082578:
	.byte	0                               ; 0x0
	.size	__hip_cuid_c3570cee55082578, 1

	.ident	"AMD clang version 22.0.0git (https://github.com/RadeonOpenCompute/llvm-project roc-7.2.4 26084 f58b06dce1f9c15707c5f808fd002e18c2accf7e)"
	.section	".note.GNU-stack","",@progbits
	.addrsig
	.addrsig_sym __hip_cuid_c3570cee55082578
	.amdgpu_metadata
---
amdhsa.kernels:
  - .args:
      - .address_space:  global
        .offset:         0
        .size:           8
        .value_kind:     global_buffer
      - .address_space:  global
        .offset:         8
        .size:           8
        .value_kind:     global_buffer
      - .actual_access:  read_only
        .address_space:  global
        .offset:         16
        .size:           8
        .value_kind:     global_buffer
      - .actual_access:  read_only
        .address_space:  global
        .offset:         24
        .size:           8
        .value_kind:     global_buffer
      - .offset:         32
        .size:           4
        .value_kind:     by_value
      - .offset:         36
        .size:           4
        .value_kind:     by_value
      - .offset:         40
        .size:           4
        .value_kind:     by_value
      - .offset:         48
        .size:           4
        .value_kind:     hidden_block_count_x
      - .offset:         52
        .size:           4
        .value_kind:     hidden_block_count_y
      - .offset:         56
        .size:           4
        .value_kind:     hidden_block_count_z
      - .offset:         60
        .size:           2
        .value_kind:     hidden_group_size_x
      - .offset:         62
        .size:           2
        .value_kind:     hidden_group_size_y
      - .offset:         64
        .size:           2
        .value_kind:     hidden_group_size_z
      - .offset:         66
        .size:           2
        .value_kind:     hidden_remainder_x
      - .offset:         68
        .size:           2
        .value_kind:     hidden_remainder_y
      - .offset:         70
        .size:           2
        .value_kind:     hidden_remainder_z
      - .offset:         88
        .size:           8
        .value_kind:     hidden_global_offset_x
      - .offset:         96
        .size:           8
        .value_kind:     hidden_global_offset_y
      - .offset:         104
        .size:           8
        .value_kind:     hidden_global_offset_z
      - .offset:         112
        .size:           2
        .value_kind:     hidden_grid_dims
    .group_segment_fixed_size: 0
    .kernarg_segment_align: 8
    .kernarg_segment_size: 304
    .language:       OpenCL C
    .language_version:
      - 2
      - 0
    .max_flat_workgroup_size: 1024
    .name:           _Z20kernelUpdateParticlePfS_PKfS1_iff
    .private_segment_fixed_size: 0
    .sgpr_count:     18
    .sgpr_spill_count: 0
    .symbol:         _Z20kernelUpdateParticlePfS_PKfS1_iff.kd
    .uniform_work_group_size: 1
    .uses_dynamic_stack: false
    .vgpr_count:     8
    .vgpr_spill_count: 0
    .wavefront_size: 32
  - .args:
      - .actual_access:  read_only
        .address_space:  global
        .offset:         0
        .size:           8
        .value_kind:     global_buffer
      - .address_space:  global
        .offset:         8
        .size:           8
        .value_kind:     global_buffer
      - .address_space:  global
        .offset:         16
        .size:           8
        .value_kind:     global_buffer
      - .offset:         24
        .size:           4
        .value_kind:     by_value
      - .offset:         32
        .size:           4
        .value_kind:     hidden_block_count_x
      - .offset:         36
        .size:           4
        .value_kind:     hidden_block_count_y
      - .offset:         40
        .size:           4
        .value_kind:     hidden_block_count_z
      - .offset:         44
        .size:           2
        .value_kind:     hidden_group_size_x
      - .offset:         46
        .size:           2
        .value_kind:     hidden_group_size_y
      - .offset:         48
        .size:           2
        .value_kind:     hidden_group_size_z
      - .offset:         50
        .size:           2
        .value_kind:     hidden_remainder_x
      - .offset:         52
        .size:           2
        .value_kind:     hidden_remainder_y
      - .offset:         54
        .size:           2
        .value_kind:     hidden_remainder_z
      - .offset:         72
        .size:           8
        .value_kind:     hidden_global_offset_x
      - .offset:         80
        .size:           8
        .value_kind:     hidden_global_offset_y
      - .offset:         88
        .size:           8
        .value_kind:     hidden_global_offset_z
      - .offset:         96
        .size:           2
        .value_kind:     hidden_grid_dims
    .group_segment_fixed_size: 0
    .kernarg_segment_align: 8
    .kernarg_segment_size: 288
    .language:       OpenCL C
    .language_version:
      - 2
      - 0
    .max_flat_workgroup_size: 1024
    .name:           _Z17kernelUpdatePBestPKfPfS1_i
    .private_segment_fixed_size: 0
    .sgpr_count:     20
    .sgpr_spill_count: 0
    .symbol:         _Z17kernelUpdatePBestPKfPfS1_i.kd
    .uniform_work_group_size: 1
    .uses_dynamic_stack: false
    .vgpr_count:     102
    .vgpr_spill_count: 0
    .wavefront_size: 32
amdhsa.target:   amdgcn-amd-amdhsa--gfx1250
amdhsa.version:
  - 1
  - 2
...

	.end_amdgpu_metadata
